;; amdgpu-corpus repo=ROCm/aiter kind=harvested arch=n/a opt=n/a

/root/src/amdgpu-assembly/repos/ROCm__aiter/hsa/gfx942/pa/pa_bf16_pertokenInt8_gqa8_1tg_4w_mtp_msk1.co:	file format elf64-amdgpu

Disassembly of section .text:

0000000000002200 <_ZN5aiter41pa_bf16_pertokenInt8_gqa8_1tg_4w_mtp_msk1E>:
	s_and_b32 s1, s1, 0xffff                                   // 000000002200: 8601FF01 0000FFFF
	s_load_dwordx2 s[8:9], s[0:1], 0x0                         // 000000002208: C0060200 00000000
	s_load_dwordx2 s[12:13], s[0:1], 0x10                      // 000000002210: C0060300 00000010
	s_load_dwordx2 s[16:17], s[0:1], 0x20                      // 000000002218: C0060400 00000020
	s_load_dwordx2 s[20:21], s[0:1], 0x30                      // 000000002220: C0060500 00000030
	s_load_dwordx2 s[24:25], s[0:1], 0x40                      // 000000002228: C0060600 00000040
	s_load_dwordx2 s[28:29], s[0:1], 0x50                      // 000000002230: C0060700 00000050
	s_load_dwordx2 s[32:33], s[0:1], 0x60                      // 000000002238: C0060800 00000060
	s_load_dwordx2 s[36:37], s[0:1], 0x70                      // 000000002240: C0060900 00000070
	s_load_dword s64, s[0:1], 0x80                             // 000000002248: C0021000 00000080
	s_load_dword s65, s[0:1], 0x90                             // 000000002250: C0021040 00000090
	s_load_dword s66, s[0:1], 0xa0                             // 000000002258: C0021080 000000A0
	s_load_dword s74, s[0:1], 0xb0                             // 000000002260: C0021280 000000B0
	s_load_dword s68, s[0:1], 0xc0                             // 000000002268: C0021100 000000C0
	s_load_dword s69, s[0:1], 0xd0                             // 000000002270: C0021140 000000D0
	s_load_dword s77, s[0:1], 0xe0                             // 000000002278: C0021340 000000E0
	s_load_dwordx2 s[80:81], s[0:1], 0xf0                      // 000000002280: C0061400 000000F0
	v_lshrrev_b32_e32 v1, 10, v0                               // 000000002288: 2002008A
	v_lshrrev_b32_e32 v2, 10, v1                               // 00000000228C: 2004028A
	v_and_b32_e32 v2, 0x3ff, v2                                // 000000002290: 260404FF 000003FF
	v_and_b32_e32 v1, 0x3ff, v1                                // 000000002298: 260202FF 000003FF
	v_and_b32_e32 v0, 0x3ff, v0                                // 0000000022A0: 260000FF 000003FF
	v_lshrrev_b32_e32 v3, 6, v0                                // 0000000022A8: 20060086
	v_and_b32_e32 v0, 63, v0                                   // 0000000022AC: 260000BF
	s_mov_b32 s2, s2                                           // 0000000022B0: BE820002
	s_mov_b32 s3, s3                                           // 0000000022B4: BE830003
	s_mov_b32 s4, s4                                           // 0000000022B8: BE840004
	v_readfirstlane_b32 s7, v3                                 // 0000000022BC: 7E0E0503
	s_waitcnt lgkmcnt(0)                                       // 0000000022C0: BF8CC07F
	s_mul_i32 s67, 0x100, s77                                  // 0000000022C4: 92434DFF 00000100
	s_mul_i32 s76, 0x100, s77                                  // 0000000022CC: 924C4DFF 00000100
	s_mul_i32 s75, s66, s76                                    // 0000000022D4: 924B4C42
	s_mul_i32 s60, s3, 4                                       // 0000000022D8: 923C8403
	s_and_b32 s29, s29, 0xffff                                 // 0000000022DC: 861DFF1D 0000FFFF
	s_add_u32 s28, s60, s28                                    // 0000000022E4: 801C1C3C
	s_addc_u32 s29, 0, s29                                     // 0000000022E8: 821D1D80
	s_load_dword s72, s[28:29], 0x0                            // 0000000022EC: C002120E 00000000
	s_mul_i32 s60, s3, 4                                       // 0000000022F4: 923C8403
	s_and_b32 s81, s81, 0xffff                                 // 0000000022F8: 8651FF51 0000FFFF
	s_add_u32 s80, s60, s80                                    // 000000002300: 8050503C
	s_addc_u32 s81, 0, s81                                     // 000000002304: 82515180
	s_load_dword s84, s[80:81], 0x0                            // 000000002308: C0021528 00000000
	s_load_dword s85, s[80:81], 0x4                            // 000000002310: C0021568 00000004
	s_mov_b32 s10, s76                                         // 000000002318: BE8A004C
	s_mov_b32 s14, s67                                         // 00000000231C: BE8E0043
	s_mul_i32 s60, 4, s65                                      // 000000002320: 923C4184
	s_mov_b32 s26, s60                                         // 000000002324: BE9A003C
	s_mov_b32 s34, 0x80000000                                  // 000000002328: BEA200FF 80000000
	s_mov_b32 s38, 0x80000000                                  // 000000002330: BEA600FF 80000000
	s_mov_b32 s18, 0x80000000                                  // 000000002338: BE9200FF 80000000
	s_mov_b32 s22, 0x80000000                                  // 000000002340: BE9600FF 80000000
	s_mov_b32 s11, 0x20000                                     // 000000002348: BE8B00FF 00020000
	s_mov_b32 s15, 0x20000                                     // 000000002350: BE8F00FF 00020000
	s_mov_b32 s19, 0x20000                                     // 000000002358: BE9300FF 00020000
	s_mov_b32 s23, 0x20000                                     // 000000002360: BE9700FF 00020000
	s_mov_b32 s27, 0x20000                                     // 000000002368: BE9B00FF 00020000
	s_mov_b32 s35, 0x20000                                     // 000000002370: BEA300FF 00020000
	s_mov_b32 s39, 0x20000                                     // 000000002378: BEA700FF 00020000
	s_and_b32 s9, s9, 0xffff                                   // 000000002380: 8609FF09 0000FFFF
	s_and_b32 s13, s13, 0xffff                                 // 000000002388: 860DFF0D 0000FFFF
	s_and_b32 s17, s17, 0xffff                                 // 000000002390: 8611FF11 0000FFFF
	s_and_b32 s21, s21, 0xffff                                 // 000000002398: 8615FF15 0000FFFF
	s_and_b32 s25, s25, 0xffff                                 // 0000000023A0: 8619FF19 0000FFFF
	s_and_b32 s33, s33, 0xffff                                 // 0000000023A8: 8621FF21 0000FFFF
	s_and_b32 s37, s37, 0xffff                                 // 0000000023B0: 8625FF25 0000FFFF
	s_or_b32 s9, s9, 0x40000                                   // 0000000023B8: 8709FF09 00040000
	s_or_b32 s13, s13, 0x40000                                 // 0000000023C0: 870DFF0D 00040000
	s_or_b32 s17, s17, 0x40000                                 // 0000000023C8: 8711FF11 00040000
	s_or_b32 s21, s21, 0x40000                                 // 0000000023D0: 8715FF15 00040000
	s_or_b32 s25, s25, 0x40000                                 // 0000000023D8: 8719FF19 00040000
	s_or_b32 s33, s33, 0x40000                                 // 0000000023E0: 8721FF21 00040000
	s_or_b32 s37, s37, 0x40000                                 // 0000000023E8: 8725FF25 00040000
	v_accvgpr_write_b32 a127, 0                                // 0000000023F0: D3D9407F 18000080
	v_mov_b32_e32 v255, 0                                      // 0000000023F8: 7FFE0280
	s_mov_b32 s88, 0                                           // 0000000023FC: BED80080
	s_waitcnt lgkmcnt(0)                                       // 000000002400: BF8CC07F
	s_sub_u32 s86, s85, s84                                    // 000000002404: 80D65455
	s_mov_b32 s60, 2                                           // 000000002408: BEBC0082
	s_cmp_eq_i32 s60, s86                                      // 00000000240C: BF00563C
	s_cbranch_scc1 label_0E73                                  // 000000002410: BF850DEE
	s_mov_b32 s60, 3                                           // 000000002414: BEBC0083
	s_cmp_eq_i32 s60, s86                                      // 000000002418: BF00563C
	s_cbranch_scc1 label_22ED                                  // 00000000241C: BF852265
	s_mov_b32 s60, 4                                           // 000000002420: BEBC0084
	s_cmp_eq_i32 s60, s86                                      // 000000002424: BF00563C
	s_cbranch_scc1 label_22EF                                  // 000000002428: BF852264
	s_mul_i32 s60, s3, s65                                     // 00000000242C: 923C4103
	s_mul_i32 s60, s60, 4                                      // 000000002430: 923C843C
	s_add_u32 s24, s60, s24                                    // 000000002434: 8018183C
	s_addc_u32 s25, 0, s25                                     // 000000002438: 82191980
	s_mov_b32 s56, 64                                          // 00000000243C: BEB800C0
	s_add_u32 s73, s72, 15                                     // 000000002440: 80498F48
	s_lshr_b32 s73, s73, 4                                     // 000000002444: 8F498449
	s_mul_i32 s60, s73, 4                                      // 000000002448: 923C8449
	s_mov_b32 s26, s60                                         // 00000000244C: BE9A003C
	v_and_b32_e32 v42, 3, v0                                   // 000000002450: 26540083
	v_cmp_eq_u32_e64 s[60:61], 0, v42                          // 000000002454: D0CA003C 00025480
	v_and_b32_e32 v41, 12, v0                                  // 00000000245C: 2652008C
	v_add_u32_e32 v1, s7, v41                                  // 000000002460: 68025207
	v_cndmask_b32_e64 v1, 0, v1, s[60:61]                      // 000000002464: D1000001 00F20280
	v_and_b32_e32 v42, 3, v0                                   // 00000000246C: 26540083
	v_cmp_eq_u32_e64 s[60:61], 1, v42                          // 000000002470: D0CA003C 00025481
	v_lshrrev_b32_e32 v41, 4, v0                               // 000000002478: 20520084
	v_and_b32_e32 v42, 12, v0                                  // 00000000247C: 2654008C
	v_add_u32_e32 v41, v42, v41                                // 000000002480: 6852532A
	v_cndmask_b32_e64 v41, 0, v41, s[60:61]                    // 000000002484: D1000029 00F25280
	v_add_u32_e32 v1, v1, v41                                  // 00000000248C: 68025301
	v_lshlrev_b32_e32 v1, 2, v1                                // 000000002490: 24020282
	buffer_load_dword v19, v1, s[24:27], 0 offen               // 000000002494: E0501000 80061301
	v_add_u32_e32 v1, s56, v1                                  // 00000000249C: 68020238
	buffer_load_dword v20, v1, s[24:27], 0 offen               // 0000000024A0: E0501000 80061401
	s_cmp_le_u32 s73, 32                                       // 0000000024A8: BF0BA049
	s_cselect_b32 s56, 0, s56                                  // 0000000024AC: 85383880
	s_mul_i32 s60, s2, s67                                     // 0000000024B0: 923C4302
	s_mul_i32 s61, s84, s74                                    // 0000000024B4: 923D4A54
	s_add_u32 s60, s60, s61                                    // 0000000024B8: 803C3D3C
	s_add_u32 s12, s60, s12                                    // 0000000024BC: 800C0C3C
	s_addc_u32 s13, 0, s13                                     // 0000000024C0: 820D0D80
	s_mul_i32 s60, s7, 0x108                                   // 0000000024C4: 923CFF07 00000108
	s_add_u32 m0, 0, s60                                       // 0000000024CC: 807C3C80
	s_mul_i32 s60, s7, 0x100                                   // 0000000024D0: 923CFF07 00000100
	v_lshlrev_b32_e32 v41, 2, v0                               // 0000000024D8: 24520082
	v_add_u32_e64 v41, v41, s60                                // 0000000024DC: D1340029 00007929
	buffer_load_dword v41, s[12:15], 0 offen lds               // 0000000024E4: E0511000 80030029
	s_mul_i32 s60, 4, 0x108                                    // 0000000024EC: 923CFF84 00000108
	s_add_u32 m0, m0, s60                                      // 0000000024F4: 807C3C7C
	v_add_u32_e32 v41, 0x400, v41                              // 0000000024F8: 685252FF 00000400
	buffer_load_dword v41, s[12:15], 0 offen lds               // 000000002500: E0511000 80030029
	s_mul_i32 s60, 4, 0x108                                    // 000000002508: 923CFF84 00000108
	s_add_u32 m0, m0, s60                                      // 000000002510: 807C3C7C
	v_add_u32_e32 v41, 0x400, v41                              // 000000002514: 685252FF 00000400
	s_mul_i32 s60, s7, 0x108                                   // 00000000251C: 923CFF07 00000108
	v_lshlrev_b32_e32 v41, 2, v0                               // 000000002524: 24520082
	v_add_u32_e64 v41, v41, s60                                // 000000002528: D1340029 00007929
	v_mov_b32_e32 v42, 0                                       // 000000002530: 7E540280
	ds_write_b32 v41, v42 offset:2112                          // 000000002534: D81A0840 00002A29
	ds_write_b32 v41, v42 offset:3168                          // 00000000253C: D81A0C60 00002A29
	v_lshrrev_b32_e32 v41, 4, v0                               // 000000002544: 20520084
	v_lshlrev_b32_e32 v41, 2, v41                              // 000000002548: 24525282
	v_and_b32_e32 v42, 3, v0                                   // 00000000254C: 26540083
	v_add_u32_e32 v41, v42, v41                                // 000000002550: 6852532A
	v_lshlrev_b32_e32 v74, 2, v41                              // 000000002554: 24945282
	v_mov_b32_e32 v75, v74                                     // 000000002558: 7E96034A
	s_mul_i32 s60, s2, 64                                      // 00000000255C: 923CC002
	s_add_u32 s32, s60, s32                                    // 000000002560: 8020203C
	s_addc_u32 s33, 0, s33                                     // 000000002564: 82212180
	s_add_u32 s36, s60, s36                                    // 000000002568: 8024243C
	s_addc_u32 s37, 0, s37                                     // 00000000256C: 82252580
	s_mul_i32 s60, s2, s76                                     // 000000002570: 923C4C02
	s_mul_i32 s61, s84, s75                                    // 000000002574: 923D4B54
	s_add_u32 s60, s60, s61                                    // 000000002578: 803C3D3C
	s_add_u32 s8, s60, s8                                      // 00000000257C: 8008083C
	s_addc_u32 s9, 0, s9                                       // 000000002580: 82090980
	s_mul_i32 s60, s7, 0x100                                   // 000000002584: 923CFF07 00000100
	v_lshlrev_b32_e32 v8, 2, v0                                // 00000000258C: 24100082
	v_add_u32_e64 v8, v8, s60                                  // 000000002590: D1340008 00007908
	s_mov_b32 s70, 0                                           // 000000002598: BEC60080
	s_and_b32 s71, s72, 0xffffff00                             // 00000000259C: 8647FF48 FFFFFF00
	s_mov_b32 s42, 0xff00ff00                                  // 0000000025A4: BEAA00FF FF00FF00
	s_mov_b32 s43, 0xff00ff00                                  // 0000000025AC: BEAB00FF FF00FF00
	s_mov_b32 s44, 0xf0f0f0f0                                  // 0000000025B4: BEAC00FF F0F0F0F0
	s_mov_b32 s45, 0xf0f0f0f0                                  // 0000000025BC: BEAD00FF F0F0F0F0
	v_mul_i32_i24_e64 v78, 64, s66                             // 0000000025C4: D106004E 000084C0
	v_mov_b32_e32 v68, s68                                     // 0000000025CC: 7E880244
	v_mov_b32_e32 v9, -1                                       // 0000000025D0: 7E1202C1
	s_mov_b32 s52, 0x7060302                                   // 0000000025D4: BEB400FF 07060302
	s_mov_b32 s53, 0x400                                       // 0000000025DC: BEB500FF 00000400
	s_mov_b32 s54, 0x40100                                     // 0000000025E4: BEB600FF 00040100
	s_mov_b32 s55, 0x4020100                                   // 0000000025EC: BEB700FF 04020100
	v_mov_b32_dpp v9, v9 row_shl:8 row_mask:0xf bank_mask:0xf bound_ctrl:1// 0000000025F4: 7E1202FA FF090809
	s_mov_b32 s6, 0x3fb8aa3b                                   // 0000000025FC: BE8600FF 3FB8AA3B
	v_mov_b32_e32 v14, 0xff800000                              // 000000002604: 7E1C02FF FF800000
	v_mov_b32_e32 v69, 0xff800000                              // 00000000260C: 7E8A02FF FF800000
	v_mov_b32_e32 v63, 0                                       // 000000002614: 7E7E0280
	v_mov_b32_e32 v47, 0                                       // 000000002618: 7E5E0280
	v_mov_b32_e32 v58, 0                                       // 00000000261C: 7E740280
	v_mov_b32_e32 v22, 0xffff0000                              // 000000002620: 7E2C02FF FFFF0000
	v_mov_b32_e32 v23, 0x7fff0000                              // 000000002628: 7E2E02FF 7FFF0000
	v_mov_b32_e32 v24, 0x7fff                                  // 000000002630: 7E3002FF 00007FFF
	v_add_u32_e32 v1, s56, v1                                  // 000000002638: 68020238
	v_and_b32_e32 v10, 15, v0                                  // 00000000263C: 2614008F
	v_lshlrev_b32_e32 v10, 2, v10                              // 000000002640: 24141482
	v_lshlrev_b32_e32 v11, 2, v0                               // 000000002644: 24160082
	s_mul_i32 s60, 0x100, s7                                   // 000000002648: 923C07FF 00000100
	v_add_u32_e32 v11, s60, v11                                // 000000002650: 6816163C
	v_lshrrev_b32_e32 v41, 4, v0                               // 000000002654: 20520084
	v_lshlrev_b32_e32 v42, 6, v41                              // 000000002658: 24545286
	v_and_b32_e32 v41, 15, v0                                  // 00000000265C: 2652008F
	v_lshlrev_b32_e32 v41, 1, v41                              // 000000002660: 24525281
	v_add_u32_e32 v42, v41, v42                                // 000000002664: 68545529
	v_lshlrev_b32_e32 v12, 2, v42                              // 000000002668: 24185482
	v_lshrrev_b32_e32 v41, 5, v0                               // 00000000266C: 20520085
	v_lshlrev_b32_e32 v42, 5, v41                              // 000000002670: 24545285
	v_and_b32_e32 v41, 31, v0                                  // 000000002674: 2652009F
	v_lshrrev_b32_e32 v43, 4, v41                              // 000000002678: 20565284
	v_add_u32_e32 v42, v43, v42                                // 00000000267C: 6854552B
	v_and_b32_e32 v41, 15, v0                                  // 000000002680: 2652008F
	v_lshlrev_b32_e32 v41, 1, v41                              // 000000002684: 24525281
	v_add_u32_e32 v42, v41, v42                                // 000000002688: 68545529
	v_lshlrev_b32_e32 v41, 2, v42                              // 00000000268C: 24525482
	s_mul_i32 s60, 0x100, s7                                   // 000000002690: 923C07FF 00000100
	v_add_u32_e64 v13, v41, s60                                // 000000002698: D134000D 00007929
	v_lshlrev_b32_e32 v6, 4, v0                                // 0000000026A0: 240C0084
	s_mul_i32 s60, s2, s69                                     // 0000000026A4: 923C4502
	s_add_u32 s16, s60, s16                                    // 0000000026A8: 8010103C
	s_addc_u32 s17, 0, s17                                     // 0000000026AC: 82111180
	v_and_b32_e32 v41, 15, v0                                  // 0000000026B0: 2652008F
	v_lshlrev_b32_e32 v7, 4, v41                               // 0000000026B4: 240E5284
	s_mul_i32 s61, s2, s69                                     // 0000000026B8: 923D4502
	s_mul_i32 s60, s7, 0x100                                   // 0000000026BC: 923CFF07 00000100
	s_add_u32 s60, s60, s61                                    // 0000000026C4: 803C3D3C
	s_add_u32 s20, s60, s20                                    // 0000000026C8: 8014143C
	s_addc_u32 s21, 0, s21                                     // 0000000026CC: 82151580
	s_waitcnt vmcnt(2)                                         // 0000000026D0: BF8C0F72
	v_mul_u32_u24_dpp v41, v19, v68 row_newbcast:0 row_mask:0xf bank_mask:0xf// 0000000026D4: 105288FA FF015013
	v_mul_u32_u24_dpp v42, v19, v68 row_newbcast:4 row_mask:0xf bank_mask:0xf// 0000000026DC: 105488FA FF015413
	v_mul_u32_u24_dpp v43, v19, v68 row_newbcast:8 row_mask:0xf bank_mask:0xf// 0000000026E4: 105688FA FF015813
	v_mul_u32_u24_dpp v44, v19, v68 row_newbcast:12 row_mask:0xf bank_mask:0xf// 0000000026EC: 105888FA FF015C13
	v_add_u32_e32 v25, v41, v6                                 // 0000000026F4: 68320D29
	v_add_u32_e32 v26, v42, v6                                 // 0000000026F8: 68340D2A
	v_add_u32_e32 v27, v43, v6                                 // 0000000026FC: 68360D2B
	v_add_u32_e32 v28, v44, v6                                 // 000000002700: 68380D2C
	v_mul_u32_u24_dpp v41, v19, v68 row_newbcast:1 row_mask:0xf bank_mask:0xf// 000000002704: 105288FA FF015113
	v_mul_u32_u24_dpp v42, v19, v68 row_newbcast:5 row_mask:0xf bank_mask:0xf// 00000000270C: 105488FA FF015513
	v_mul_u32_u24_dpp v43, v19, v68 row_newbcast:9 row_mask:0xf bank_mask:0xf// 000000002714: 105688FA FF015913
	v_mul_u32_u24_dpp v44, v19, v68 row_newbcast:13 row_mask:0xf bank_mask:0xf// 00000000271C: 105888FA FF015D13
	v_add_u32_e32 v33, v41, v7                                 // 000000002724: 68420F29
	v_add_u32_e32 v34, v42, v7                                 // 000000002728: 68440F2A
	v_add_u32_e32 v35, v43, v7                                 // 00000000272C: 68460F2B
	v_add_u32_e32 v36, v44, v7                                 // 000000002730: 68480F2C
	v_mul_u32_u24_dpp v41, v19, v78 quad_perm:[0,0,0,0] row_mask:0xf bank_mask:0xf// 000000002734: 10529CFA FF000013
	v_add_u32_e32 v2, v41, v74                                 // 00000000273C: 68049529
	v_mul_u32_u24_dpp v41, v19, v78 quad_perm:[0,0,0,0] row_mask:0xf bank_mask:0xf// 000000002740: 10529CFA FF000013
	v_add_u32_e32 v70, v41, v75                                // 000000002748: 688C9729
	buffer_load_dword v52, v2, s[32:35], 0 offen               // 00000000274C: E0501000 80083402
	buffer_load_dwordx4 a[0:3], v25, s[16:19], 0 offen         // 000000002754: E05C1000 80840019
	buffer_load_dwordx4 a[4:7], v25, s[16:19], 0 offen offset:1024// 00000000275C: E05C1400 80840419
	buffer_load_dwordx4 a[8:11], v26, s[16:19], 0 offen        // 000000002764: E05C1000 8084081A
	buffer_load_dwordx4 a[12:15], v26, s[16:19], 0 offen offset:1024// 00000000276C: E05C1400 80840C1A
	buffer_load_dwordx4 a[16:19], v27, s[16:19], 0 offen       // 000000002774: E05C1000 8084101B
	buffer_load_dwordx4 a[20:23], v27, s[16:19], 0 offen offset:1024// 00000000277C: E05C1400 8084141B
	buffer_load_dwordx4 a[24:27], v28, s[16:19], 0 offen       // 000000002784: E05C1000 8084181C
	buffer_load_dwordx4 a[28:31], v28, s[16:19], 0 offen offset:1024// 00000000278C: E05C1400 80841C1C
	buffer_load_dword v72, v70, s[36:39], 0 offen              // 000000002794: E0501000 80094846
	buffer_load_dwordx4 a[64:67], v33, s[20:23], 0 offen       // 00000000279C: E05C1000 80854021
	buffer_load_dwordx4 a[68:71], v34, s[20:23], 0 offen       // 0000000027A4: E05C1000 80854422
	buffer_load_dwordx4 a[72:75], v35, s[20:23], 0 offen       // 0000000027AC: E05C1000 80854823
	buffer_load_dwordx4 a[76:79], v36, s[20:23], 0 offen       // 0000000027B4: E05C1000 80854C24
	buffer_load_dwordx4 a[80:83], v33, s[20:23], 0 offen offset:1024// 0000000027BC: E05C1400 80855021
	buffer_load_dwordx4 a[84:87], v34, s[20:23], 0 offen offset:1024// 0000000027C4: E05C1400 80855422
	buffer_load_dwordx4 a[88:91], v35, s[20:23], 0 offen offset:1024// 0000000027CC: E05C1400 80855823
	buffer_load_dwordx4 a[92:95], v36, s[20:23], 0 offen offset:1024// 0000000027D4: E05C1400 80855C24
	v_lshrrev_b32_e32 v41, 4, v0                               // 0000000027DC: 20520084
	v_lshlrev_b32_e32 v42, 1, v41                              // 0000000027E0: 24545281
	v_and_b32_e32 v41, 15, v0                                  // 0000000027E4: 2652008F
	v_mul_i32_i24_e32 v41, 0x42, v41                           // 0000000027E8: 0C5252FF 00000042
	v_add_u32_e32 v42, v41, v42                                // 0000000027F0: 68545529
	v_lshlrev_b32_e32 v4, 2, v42                               // 0000000027F4: 24085482
	s_mul_i32 s60, s7, 32                                      // 0000000027F8: 923CA007
	v_add_u32_e32 v4, s60, v4                                  // 0000000027FC: 6808083C
	s_waitcnt vmcnt(16) lgkmcnt(0)                             // 000000002800: BF8C4070
	s_barrier                                                  // 000000002804: BF8A0000
	ds_read_b64 v[96:97], v4                                   // 000000002808: D8EC0000 60000004
	ds_read_b64 v[100:101], v4 offset:128                      // 000000002810: D8EC0080 64000004
	s_waitcnt lgkmcnt(0)                                       // 000000002818: BF8CC07F
	v_and_b32_e32 v99, 0xffff0000, v97                         // 00000000281C: 26C6C2FF FFFF0000
	v_lshlrev_b32_e32 v98, 16, v97                             // 000000002824: 24C4C290
	v_and_b32_e32 v97, 0xffff0000, v96                         // 000000002828: 26C2C0FF FFFF0000
	v_lshlrev_b32_e32 v96, 16, v96                             // 000000002830: 24C0C090
	v_and_b32_e32 v103, 0xffff0000, v101                       // 000000002834: 26CECAFF FFFF0000
	v_lshlrev_b32_e32 v102, 16, v101                           // 00000000283C: 24CCCA90
	v_and_b32_e32 v101, 0xffff0000, v100                       // 000000002840: 26CAC8FF FFFF0000
	v_lshlrev_b32_e32 v100, 16, v100                           // 000000002848: 24C8C890
	v_mov_b32_e32 v62, 0x358637bd                              // 00000000284C: 7E7C02FF 358637BD
	v_max3_f32 v62, |v96|, |v97|, v62                          // 000000002854: D1D3033E 04FAC360
	v_max3_f32 v62, |v98|, |v99|, v62                          // 00000000285C: D1D3033E 04FAC762
	v_max3_f32 v62, |v100|, |v101|, v62                        // 000000002864: D1D3033E 04FACB64
	v_max3_f32 v62, |v102|, |v103|, v62                        // 00000000286C: D1D3033E 04FACF66
	ds_write_b32 v11, v62 offset:16896                         // 000000002874: D81A4200 00003E0B
	s_waitcnt lgkmcnt(0)                                       // 00000000287C: BF8CC07F
	s_barrier                                                  // 000000002880: BF8A0000
	ds_read_b32 v80, v10 offset:16896                          // 000000002884: D86C4200 5000000A
	ds_read_b32 v81, v10 offset:16960                          // 00000000288C: D86C4240 5100000A
	ds_read_b32 v82, v10 offset:17024                          // 000000002894: D86C4280 5200000A
	ds_read_b32 v83, v10 offset:17088                          // 00000000289C: D86C42C0 5300000A
	ds_read_b32 v84, v10 offset:17152                          // 0000000028A4: D86C4300 5400000A
	ds_read_b32 v85, v10 offset:17216                          // 0000000028AC: D86C4340 5500000A
	ds_read_b32 v86, v10 offset:17280                          // 0000000028B4: D86C4380 5600000A
	ds_read_b32 v87, v10 offset:17344                          // 0000000028BC: D86C43C0 5700000A
	ds_read_b32 v88, v10 offset:17408                          // 0000000028C4: D86C4400 5800000A
	ds_read_b32 v89, v10 offset:17472                          // 0000000028CC: D86C4440 5900000A
	ds_read_b32 v90, v10 offset:17536                          // 0000000028D4: D86C4480 5A00000A
	ds_read_b32 v91, v10 offset:17600                          // 0000000028DC: D86C44C0 5B00000A
	ds_read_b32 v92, v10 offset:17664                          // 0000000028E4: D86C4500 5C00000A
	ds_read_b32 v93, v10 offset:17728                          // 0000000028EC: D86C4540 5D00000A
	ds_read_b32 v94, v10 offset:17792                          // 0000000028F4: D86C4580 5E00000A
	ds_read_b32 v95, v10 offset:17856                          // 0000000028FC: D86C45C0 5F00000A
	s_waitcnt lgkmcnt(0)                                       // 000000002904: BF8CC07F
	v_max3_f32 v62, |v80|, |v81|, v62                          // 000000002908: D1D3033E 04FAA350
	v_max3_f32 v62, |v82|, |v83|, v62                          // 000000002910: D1D3033E 04FAA752
	v_max3_f32 v62, |v84|, |v85|, v62                          // 000000002918: D1D3033E 04FAAB54
	v_max3_f32 v62, |v86|, |v87|, v62                          // 000000002920: D1D3033E 04FAAF56
	v_max3_f32 v62, |v88|, |v89|, v62                          // 000000002928: D1D3033E 04FAB358
	v_max3_f32 v62, |v90|, |v91|, v62                          // 000000002930: D1D3033E 04FAB75A
	v_max3_f32 v62, |v92|, |v93|, v62                          // 000000002938: D1D3033E 04FABB5C
	v_max3_f32 v62, |v94|, |v95|, v62                          // 000000002940: D1D3033E 04FABF5E
	v_rcp_f32_e32 v62, v62                                     // 000000002948: 7E7C453E
	s_nop 1                                                    // 00000000294C: BF800001
	v_mul_f32_e32 v62, 0x42fe0000, v62                         // 000000002950: 0A7C7CFF 42FE0000
	v_mul_f32_e32 v96, v62, v96                                // 000000002958: 0AC0C13E
	v_mul_f32_e32 v97, v62, v97                                // 00000000295C: 0AC2C33E
	v_mul_f32_e32 v98, v62, v98                                // 000000002960: 0AC4C53E
	v_mul_f32_e32 v99, v62, v99                                // 000000002964: 0AC6C73E
	v_mul_f32_e32 v100, v62, v100                              // 000000002968: 0AC8C93E
	v_mul_f32_e32 v101, v62, v101                              // 00000000296C: 0ACACB3E
	v_mul_f32_e32 v102, v62, v102                              // 000000002970: 0ACCCD3E
	v_mul_f32_e32 v103, v62, v103                              // 000000002974: 0ACECF3E
	v_cvt_i32_f32_e32 v96, v96                                 // 000000002978: 7EC01160
	v_cvt_i32_f32_e32 v97, v97                                 // 00000000297C: 7EC21161
	v_cvt_i32_f32_e32 v98, v98                                 // 000000002980: 7EC41162
	v_cvt_i32_f32_e32 v99, v99                                 // 000000002984: 7EC61163
	v_cvt_i32_f32_e32 v100, v100                               // 000000002988: 7EC81164
	v_cvt_i32_f32_e32 v101, v101                               // 00000000298C: 7ECA1165
	v_cvt_i32_f32_e32 v102, v102                               // 000000002990: 7ECC1166
	v_cvt_i32_f32_e32 v103, v103                               // 000000002994: 7ECE1167
	v_rcp_f32_e32 v54, v62                                     // 000000002998: 7E6C453E
	v_perm_b32 v96, v97, v96, s53                              // 00000000299C: D1ED0060 00D6C161
	v_perm_b32 v96, v98, v96, s54                              // 0000000029A4: D1ED0060 00DAC162
	v_perm_b32 v96, v99, v96, s55                              // 0000000029AC: D1ED0060 00DEC163
	v_perm_b32 v97, v101, v100, s53                            // 0000000029B4: D1ED0061 00D6C965
	v_perm_b32 v97, v102, v97, s54                             // 0000000029BC: D1ED0061 00DAC366
	v_perm_b32 v97, v103, v97, s55                             // 0000000029C4: D1ED0061 00DEC367
	ds_write_b32 v13, v96 offset:25088                         // 0000000029CC: D81A6200 0000600D
	ds_write_b32 v13, v97 offset:26112                         // 0000000029D4: D81A6600 0000610D
	s_waitcnt lgkmcnt(0)                                       // 0000000029DC: BF8CC07F
	s_barrier                                                  // 0000000029E0: BF8A0000
	v_and_b32_e32 v54, v9, v54                                 // 0000000029E4: 266C6D09
	ds_read_b64 v[96:97], v12 offset:25088                     // 0000000029E8: D8EC6200 6000000C
	ds_read_b64 v[98:99], v12 offset:25216                     // 0000000029F0: D8EC6280 6200000C
	ds_read_b64 v[100:101], v12 offset:26112                   // 0000000029F8: D8EC6600 6400000C
	ds_read_b64 v[102:103], v12 offset:26240                   // 000000002A00: D8EC6680 6600000C
	v_mov_b32_e32 v224, 0                                      // 000000002A08: 7FC00280
	v_mov_b32_e32 v225, 0                                      // 000000002A0C: 7FC20280
	v_mov_b32_e32 v226, 0                                      // 000000002A10: 7FC40280
	v_mov_b32_e32 v227, 0                                      // 000000002A14: 7FC60280
	v_mov_b32_e32 v192, 0                                      // 000000002A18: 7F800280
	v_mov_b32_e32 v193, 0                                      // 000000002A1C: 7F820280
	v_mov_b32_e32 v194, 0                                      // 000000002A20: 7F840280
	v_mov_b32_e32 v195, 0                                      // 000000002A24: 7F860280
	v_mov_b32_e32 v196, 0                                      // 000000002A28: 7F880280
	v_mov_b32_e32 v197, 0                                      // 000000002A2C: 7F8A0280
	v_mov_b32_e32 v198, 0                                      // 000000002A30: 7F8C0280
	v_mov_b32_e32 v199, 0                                      // 000000002A34: 7F8E0280
	v_or_b32_dpp v54, v54, v54 row_shr:8 row_mask:0xf bank_mask:0xf bound_ctrl:1// 000000002A38: 286C6CFA FF091836
	s_waitcnt vmcnt(8) lgkmcnt(0)                              // 000000002A40: BF8C0078
	s_barrier                                                  // 000000002A44: BF8A0000
	s_cmp_lt_u32 s73, 16                                       // 000000002A48: BF0A9049
	s_cbranch_scc1 label_09E3                                  // 000000002A4C: BF8507CF
	s_cmp_lt_i32 s7, 2                                         // 000000002A50: BF048207
	s_cbranch_scc0 label_05FE                                  // 000000002A54: BF8403E8

0000000000002a58 <label_0216>:
	s_waitcnt vmcnt(8) lgkmcnt(0)                              // 000000002A58: BF8C0078
	v_mul_u32_u24_dpp v41, v20, v68 row_newbcast:0 row_mask:0xf bank_mask:0xf// 000000002A5C: 105288FA FF015014
	v_mul_u32_u24_dpp v42, v20, v68 row_newbcast:4 row_mask:0xf bank_mask:0xf// 000000002A64: 105488FA FF015414
	v_mul_u32_u24_dpp v43, v20, v68 row_newbcast:8 row_mask:0xf bank_mask:0xf// 000000002A6C: 105688FA FF015814
	v_mul_u32_u24_dpp v44, v20, v68 row_newbcast:12 row_mask:0xf bank_mask:0xf// 000000002A74: 105888FA FF015C14
	v_add_u32_e32 v29, v41, v6                                 // 000000002A7C: 683A0D29
	v_add_u32_e32 v30, v42, v6                                 // 000000002A80: 683C0D2A
	v_add_u32_e32 v31, v43, v6                                 // 000000002A84: 683E0D2B
	v_add_u32_e32 v32, v44, v6                                 // 000000002A88: 68400D2C
	v_mul_u32_u24_dpp v41, v20, v78 quad_perm:[0,0,0,0] row_mask:0xf bank_mask:0xf// 000000002A8C: 10529CFA FF000014
	v_add_u32_e32 v3, v41, v74                                 // 000000002A94: 68069529
	v_mul_u32_u24_dpp v41, v20, v78 quad_perm:[0,0,0,0] row_mask:0xf bank_mask:0xf// 000000002A98: 10529CFA FF000014
	v_add_u32_e32 v71, v41, v75                                // 000000002AA0: 688E9729
	v_mfma_i32_16x16x32_i8 v[128:131], a[0:1], v[96:97], 0     // 000000002AA4: D3D70080 0A02C100
	v_mfma_i32_16x16x32_i8 v[128:131], a[2:3], v[98:99], v[128:131]// 000000002AAC: D3D70080 0E02C502
	buffer_load_dwordx4 a[32:35], v29, s[16:19], 0 offen       // 000000002AB4: E05C1000 8084201D
	v_mfma_i32_16x16x32_i8 v[128:131], a[4:5], v[100:101], v[128:131]// 000000002ABC: D3D70080 0E02C904
	v_mfma_i32_16x16x32_i8 v[128:131], a[6:7], v[102:103], v[128:131]// 000000002AC4: D3D70080 0E02CD06
	buffer_load_dword v19, v1, s[24:27], 0 offen               // 000000002ACC: E0501000 80061301
	v_mfma_i32_16x16x32_i8 v[132:135], a[8:9], v[96:97], 0     // 000000002AD4: D3D70084 0A02C108
	v_mfma_i32_16x16x32_i8 v[132:135], a[10:11], v[98:99], v[132:135]// 000000002ADC: D3D70084 0E12C50A
	buffer_load_dwordx4 a[36:39], v29, s[16:19], 0 offen offset:1024// 000000002AE4: E05C1400 8084241D
	v_mfma_i32_16x16x32_i8 v[132:135], a[12:13], v[100:101], v[132:135]// 000000002AEC: D3D70084 0E12C90C
	v_mfma_i32_16x16x32_i8 v[132:135], a[14:15], v[102:103], v[132:135]// 000000002AF4: D3D70084 0E12CD0E
	v_mfma_i32_16x16x32_i8 v[136:139], a[16:17], v[96:97], 0   // 000000002AFC: D3D70088 0A02C110
	v_mfma_i32_16x16x32_i8 v[136:139], a[18:19], v[98:99], v[136:139]// 000000002B04: D3D70088 0E22C512
	buffer_load_dwordx4 a[40:43], v30, s[16:19], 0 offen       // 000000002B0C: E05C1000 8084281E
	v_mfma_i32_16x16x32_i8 v[136:139], a[20:21], v[100:101], v[136:139]// 000000002B14: D3D70088 0E22C914
	v_mfma_i32_16x16x32_i8 v[136:139], a[22:23], v[102:103], v[136:139]// 000000002B1C: D3D70088 0E22CD16
	v_mfma_i32_16x16x32_i8 v[140:143], a[24:25], v[96:97], 0   // 000000002B24: D3D7008C 0A02C118
	v_mfma_i32_16x16x32_i8 v[140:143], a[26:27], v[98:99], v[140:143]// 000000002B2C: D3D7008C 0E32C51A
	buffer_load_dwordx4 a[44:47], v30, s[16:19], 0 offen offset:1024// 000000002B34: E05C1400 80842C1E
	v_mfma_i32_16x16x32_i8 v[140:143], a[28:29], v[100:101], v[140:143]// 000000002B3C: D3D7008C 0E32C91C
	v_mfma_i32_16x16x32_i8 v[140:143], a[30:31], v[102:103], v[140:143]// 000000002B44: D3D7008C 0E32CD1E
	buffer_load_dword v53, v3, s[32:35], 0 offen               // 000000002B4C: E0501000 80083503
	v_mov_b32_dpp v41, v52 row_shr:4 row_mask:0xf bank_mask:0xf// 000000002B54: 7E5202FA FF011434
	v_mov_b32_dpp v42, v52 row_shl:4 row_mask:0xf bank_mask:0xf// 000000002B5C: 7E5402FA FF010434
	v_cndmask_b32_e64 v248, v52, v41, s[44:45]                 // 000000002B64: D10000F8 00B25334
	v_cndmask_b32_e64 v249, v42, v52, s[44:45]                 // 000000002B6C: D10000F9 00B2692A
	v_mov_b32_dpp v41, v72 row_shr:4 row_mask:0xf bank_mask:0xf// 000000002B74: 7E5202FA FF011448
	v_mov_b32_dpp v42, v72 row_shl:4 row_mask:0xf bank_mask:0xf// 000000002B7C: 7E5402FA FF010448
	v_cndmask_b32_e64 v252, v72, v41, s[44:45]                 // 000000002B84: D10000FC 00B25348
	v_cndmask_b32_e64 v253, v42, v72, s[44:45]                 // 000000002B8C: D10000FD 00B2912A
	v_or_b32_dpp v128, v136, v128 row_shr:8 row_mask:0xf bank_mask:0xf bound_ctrl:1// 000000002B94: 290100FA FF091888
	v_or_b32_dpp v129, v137, v129 row_shr:8 row_mask:0xf bank_mask:0xf bound_ctrl:1// 000000002B9C: 290302FA FF091889
	v_or_b32_dpp v130, v138, v130 row_shr:8 row_mask:0xf bank_mask:0xf bound_ctrl:1// 000000002BA4: 290504FA FF09188A
	v_or_b32_dpp v131, v139, v131 row_shr:8 row_mask:0xf bank_mask:0xf bound_ctrl:1// 000000002BAC: 290706FA FF09188B
	v_or_b32_dpp v132, v140, v132 row_shr:8 row_mask:0xf bank_mask:0xf bound_ctrl:1// 000000002BB4: 290908FA FF09188C
	v_or_b32_dpp v133, v141, v133 row_shr:8 row_mask:0xf bank_mask:0xf bound_ctrl:1// 000000002BBC: 290B0AFA FF09188D
	v_or_b32_dpp v134, v142, v134 row_shr:8 row_mask:0xf bank_mask:0xf bound_ctrl:1// 000000002BC4: 290D0CFA FF09188E
	v_or_b32_dpp v135, v143, v135 row_shr:8 row_mask:0xf bank_mask:0xf bound_ctrl:1// 000000002BCC: 290F0EFA FF09188F
	buffer_load_dword v73, v71, s[36:39], 0 offen              // 000000002BD4: E0501000 80094947
	v_cvt_f32_i32_e32 v128, v128                               // 000000002BDC: 7F000B80
	v_cvt_f32_i32_e32 v129, v129                               // 000000002BE0: 7F020B81
	v_cvt_f32_i32_e32 v130, v130                               // 000000002BE4: 7F040B82
	v_cvt_f32_i32_e32 v131, v131                               // 000000002BE8: 7F060B83
	v_cvt_f32_i32_e32 v132, v132                               // 000000002BEC: 7F080B84
	v_cvt_f32_i32_e32 v133, v133                               // 000000002BF0: 7F0A0B85
	v_cvt_f32_i32_e32 v134, v134                               // 000000002BF4: 7F0C0B86
	v_cvt_f32_i32_e32 v135, v135                               // 000000002BF8: 7F0E0B87
	v_mul_f32_e32 v128, v54, v128                              // 000000002BFC: 0B010136
	v_mul_f32_e32 v129, v54, v129                              // 000000002C00: 0B030336
	v_mul_f32_e32 v130, v54, v130                              // 000000002C04: 0B050536
	v_mul_f32_e32 v131, v54, v131                              // 000000002C08: 0B070736
	v_mul_f32_e32 v132, v54, v132                              // 000000002C0C: 0B090936
	v_mul_f32_e32 v133, v54, v133                              // 000000002C10: 0B0B0B36
	v_mul_f32_e32 v134, v54, v134                              // 000000002C14: 0B0D0D36
	v_mul_f32_e32 v135, v54, v135                              // 000000002C18: 0B0F0F36
	buffer_load_dwordx4 a[48:51], v31, s[16:19], 0 offen       // 000000002C1C: E05C1000 8084301F
	v_mul_f32_dpp v128, v248, v128 quad_perm:[0,0,0,0] row_mask:0xf bank_mask:0xf// 000000002C24: 0B0100FA FF0000F8
	v_mul_f32_dpp v129, v248, v129 quad_perm:[1,1,1,1] row_mask:0xf bank_mask:0xf// 000000002C2C: 0B0302FA FF0055F8
	v_mul_f32_dpp v130, v248, v130 quad_perm:[2,2,2,2] row_mask:0xf bank_mask:0xf// 000000002C34: 0B0504FA FF00AAF8
	v_mul_f32_dpp v131, v248, v131 quad_perm:[3,3,3,3] row_mask:0xf bank_mask:0xf// 000000002C3C: 0B0706FA FF00FFF8
	v_mul_f32_dpp v132, v249, v132 quad_perm:[0,0,0,0] row_mask:0xf bank_mask:0xf// 000000002C44: 0B0908FA FF0000F9
	v_mul_f32_dpp v133, v249, v133 quad_perm:[1,1,1,1] row_mask:0xf bank_mask:0xf// 000000002C4C: 0B0B0AFA FF0055F9
	v_mul_f32_dpp v134, v249, v134 quad_perm:[2,2,2,2] row_mask:0xf bank_mask:0xf// 000000002C54: 0B0D0CFA FF00AAF9
	v_mul_f32_dpp v135, v249, v135 quad_perm:[3,3,3,3] row_mask:0xf bank_mask:0xf// 000000002C5C: 0B0F0EFA FF00FFF9
	buffer_load_dwordx4 a[52:55], v31, s[16:19], 0 offen offset:1024// 000000002C64: E05C1400 8084341F
	v_mov_b32_e32 v62, v128                                    // 000000002C6C: 7E7C0380
	v_max3_f32 v62, v128, v129, v62                            // 000000002C70: D1D3003E 04FB0380
	v_max3_f32 v62, v130, v131, v62                            // 000000002C78: D1D3003E 04FB0782
	v_max3_f32 v62, v132, v133, v62                            // 000000002C80: D1D3003E 04FB0B84
	v_max3_f32 v62, v134, v135, v62                            // 000000002C88: D1D3003E 04FB0F86
	ds_write_b32 v11, v62 offset:16896                         // 000000002C90: D81A4200 00003E0B
	buffer_load_dwordx4 a[56:59], v32, s[16:19], 0 offen       // 000000002C98: E05C1000 80843820
	v_mul_u32_u24_dpp v41, v20, v68 row_newbcast:1 row_mask:0xf bank_mask:0xf// 000000002CA0: 105288FA FF015114
	v_mul_u32_u24_dpp v42, v20, v68 row_newbcast:5 row_mask:0xf bank_mask:0xf// 000000002CA8: 105488FA FF015514
	v_mul_u32_u24_dpp v43, v20, v68 row_newbcast:9 row_mask:0xf bank_mask:0xf// 000000002CB0: 105688FA FF015914
	v_mul_u32_u24_dpp v44, v20, v68 row_newbcast:13 row_mask:0xf bank_mask:0xf// 000000002CB8: 105888FA FF015D14
	v_add_u32_e32 v37, v41, v7                                 // 000000002CC0: 684A0F29
	v_add_u32_e32 v38, v42, v7                                 // 000000002CC4: 684C0F2A
	v_add_u32_e32 v39, v43, v7                                 // 000000002CC8: 684E0F2B
	v_add_u32_e32 v40, v44, v7                                 // 000000002CCC: 68500F2C
	s_waitcnt lgkmcnt(0)                                       // 000000002CD0: BF8CC07F
	s_barrier                                                  // 000000002CD4: BF8A0000
	ds_read_b32 v80, v10 offset:16896                          // 000000002CD8: D86C4200 5000000A
	ds_read_b32 v81, v10 offset:16960                          // 000000002CE0: D86C4240 5100000A
	ds_read_b32 v82, v10 offset:17024                          // 000000002CE8: D86C4280 5200000A
	ds_read_b32 v83, v10 offset:17088                          // 000000002CF0: D86C42C0 5300000A
	ds_read_b32 v84, v10 offset:17152                          // 000000002CF8: D86C4300 5400000A
	ds_read_b32 v85, v10 offset:17216                          // 000000002D00: D86C4340 5500000A
	ds_read_b32 v86, v10 offset:17280                          // 000000002D08: D86C4380 5600000A
	ds_read_b32 v87, v10 offset:17344                          // 000000002D10: D86C43C0 5700000A
	ds_read_b32 v88, v10 offset:17408                          // 000000002D18: D86C4400 5800000A
	ds_read_b32 v89, v10 offset:17472                          // 000000002D20: D86C4440 5900000A
	ds_read_b32 v90, v10 offset:17536                          // 000000002D28: D86C4480 5A00000A
	ds_read_b32 v91, v10 offset:17600                          // 000000002D30: D86C44C0 5B00000A
	ds_read_b32 v92, v10 offset:17664                          // 000000002D38: D86C4500 5C00000A
	ds_read_b32 v93, v10 offset:17728                          // 000000002D40: D86C4540 5D00000A
	ds_read_b32 v94, v10 offset:17792                          // 000000002D48: D86C4580 5E00000A
	ds_read_b32 v95, v10 offset:17856                          // 000000002D50: D86C45C0 5F00000A
	buffer_load_dwordx4 a[60:63], v32, s[16:19], 0 offen offset:1024// 000000002D58: E05C1400 80843C20
	v_mul_f32_e32 v224, v63, v224                              // 000000002D60: 0BC1C13F
	v_mul_f32_e32 v225, v63, v225                              // 000000002D64: 0BC3C33F
	v_mul_f32_e32 v226, v63, v226                              // 000000002D68: 0BC5C53F
	v_mul_f32_e32 v227, v63, v227                              // 000000002D6C: 0BC7C73F
	v_or_b32_dpp v192, v196, v192 row_shr:8 row_mask:0xf bank_mask:0xf bound_ctrl:1// 000000002D70: 298180FA FF0918C4
	v_or_b32_dpp v193, v197, v193 row_shr:8 row_mask:0xf bank_mask:0xf bound_ctrl:1// 000000002D78: 298382FA FF0918C5
	v_or_b32_dpp v194, v198, v194 row_shr:8 row_mask:0xf bank_mask:0xf bound_ctrl:1// 000000002D80: 298584FA FF0918C6
	v_or_b32_dpp v195, v199, v195 row_shr:8 row_mask:0xf bank_mask:0xf bound_ctrl:1// 000000002D88: 298786FA FF0918C7
	s_waitcnt lgkmcnt(0)                                       // 000000002D90: BF8CC07F
	v_max3_f32 v62, v80, v81, v62                              // 000000002D94: D1D3003E 04FAA350
	v_max3_f32 v62, v82, v83, v62                              // 000000002D9C: D1D3003E 04FAA752
	v_max3_f32 v62, v84, v85, v62                              // 000000002DA4: D1D3003E 04FAAB54
	v_max3_f32 v62, v86, v87, v62                              // 000000002DAC: D1D3003E 04FAAF56
	v_max3_f32 v62, v88, v89, v62                              // 000000002DB4: D1D3003E 04FAB358
	v_max3_f32 v62, v90, v91, v62                              // 000000002DBC: D1D3003E 04FAB75A
	v_max3_f32 v62, v92, v93, v62                              // 000000002DC4: D1D3003E 04FABB5C
	v_max3_f32 v62, v94, v95, v62                              // 000000002DCC: D1D3003E 04FABF5E
	buffer_load_dwordx4 a[96:99], v37, s[20:23], 0 offen       // 000000002DD4: E05C1000 80856025
	v_cmp_eq_u32_e64 s[40:41], v69, v14                        // 000000002DDC: D0CA0028 00021D45
	s_nop 1                                                    // 000000002DE4: BF800001
	v_mov_b32_dpp v41, v62 row_ror:8 row_mask:0xf bank_mask:0xf// 000000002DE8: 7E5202FA FF01283E
	v_max_f32_e32 v62, v62, v41                                // 000000002DF0: 167C533E
	v_max_f32_e32 v18, v62, v14                                // 000000002DF4: 16241D3E
	v_mul_f32_e32 v67, s64, v18                                // 000000002DF8: 0A862440
	v_fma_f32 v128, v128, s64, -v67                            // 000000002DFC: D1CB0080 850C8180
	v_fma_f32 v129, v129, s64, -v67                            // 000000002E04: D1CB0081 850C8181
	v_fma_f32 v130, v130, s64, -v67                            // 000000002E0C: D1CB0082 850C8182
	v_fma_f32 v131, v131, s64, -v67                            // 000000002E14: D1CB0083 850C8183
	v_fma_f32 v132, v132, s64, -v67                            // 000000002E1C: D1CB0084 850C8184
	v_fma_f32 v133, v133, s64, -v67                            // 000000002E24: D1CB0085 850C8185
	v_fma_f32 v134, v134, s64, -v67                            // 000000002E2C: D1CB0086 850C8186
	v_fma_f32 v135, v135, s64, -v67                            // 000000002E34: D1CB0087 850C8187
	buffer_load_dwordx4 a[100:103], v38, s[20:23], 0 offen     // 000000002E3C: E05C1000 80856426
	v_exp_f32_e32 v128, v128                                   // 000000002E44: 7F004180
	v_exp_f32_e32 v129, v129                                   // 000000002E48: 7F024181
	v_exp_f32_e32 v130, v130                                   // 000000002E4C: 7F044182
	v_exp_f32_e32 v131, v131                                   // 000000002E50: 7F064183
	v_exp_f32_e32 v132, v132                                   // 000000002E54: 7F084184
	v_exp_f32_e32 v133, v133                                   // 000000002E58: 7F0A4185
	v_exp_f32_e32 v134, v134                                   // 000000002E5C: 7F0C4186
	v_exp_f32_e32 v135, v135                                   // 000000002E60: 7F0E4187
	buffer_load_dwordx4 a[104:107], v39, s[20:23], 0 offen     // 000000002E64: E05C1000 80856827
	v_mul_f32_dpp v240, v252, v128 quad_perm:[0,0,0,0] row_mask:0xf bank_mask:0xf// 000000002E6C: 0BE100FA FF0000FC
	v_mul_f32_dpp v241, v252, v129 quad_perm:[1,1,1,1] row_mask:0xf bank_mask:0xf// 000000002E74: 0BE302FA FF0055FC
	v_mul_f32_dpp v242, v252, v130 quad_perm:[2,2,2,2] row_mask:0xf bank_mask:0xf// 000000002E7C: 0BE504FA FF00AAFC
	v_mul_f32_dpp v243, v252, v131 quad_perm:[3,3,3,3] row_mask:0xf bank_mask:0xf// 000000002E84: 0BE706FA FF00FFFC
	v_mul_f32_dpp v244, v253, v132 quad_perm:[0,0,0,0] row_mask:0xf bank_mask:0xf// 000000002E8C: 0BE908FA FF0000FD
	v_mul_f32_dpp v245, v253, v133 quad_perm:[1,1,1,1] row_mask:0xf bank_mask:0xf// 000000002E94: 0BEB0AFA FF0055FD
	v_mul_f32_dpp v246, v253, v134 quad_perm:[2,2,2,2] row_mask:0xf bank_mask:0xf// 000000002E9C: 0BED0CFA FF00AAFD
	v_mul_f32_dpp v247, v253, v135 quad_perm:[3,3,3,3] row_mask:0xf bank_mask:0xf// 000000002EA4: 0BEF0EFA FF00FFFD
	v_mov_b32_e32 v62, 0x358637bd                              // 000000002EAC: 7E7C02FF 358637BD
	v_max3_f32 v62, |v240|, |v241|, v62                        // 000000002EB4: D1D3033E 04FBE3F0
	v_max3_f32 v62, |v242|, |v243|, v62                        // 000000002EBC: D1D3033E 04FBE7F2
	v_max3_f32 v62, |v244|, |v245|, v62                        // 000000002EC4: D1D3033E 04FBEBF4
	v_max3_f32 v62, |v246|, |v247|, v62                        // 000000002ECC: D1D3033E 04FBEFF6
	buffer_load_dwordx4 a[108:111], v40, s[20:23], 0 offen     // 000000002ED4: E05C1000 80856C28
	ds_write_b32 v11, v62 offset:20992                         // 000000002EDC: D81A5200 00003E0B
	v_sub_f32_e32 v63, v14, v18                                // 000000002EE4: 047E250E
	v_cndmask_b32_e64 v63, v63, 0, s[40:41]                    // 000000002EE8: D100003F 00A1013F
	v_mov_b32_e32 v14, v18                                     // 000000002EF0: 7E1C0312
	v_mul_f32_e32 v63, s64, v63                                // 000000002EF4: 0A7E7E40
	v_exp_f32_e32 v63, v63                                     // 000000002EF8: 7E7E413F
	s_waitcnt lgkmcnt(0)                                       // 000000002EFC: BF8CC07F
	s_barrier                                                  // 000000002F00: BF8A0000
	ds_read_b32 v80, v10 offset:20992                          // 000000002F04: D86C5200 5000000A
	ds_read_b32 v81, v10 offset:21056                          // 000000002F0C: D86C5240 5100000A
	ds_read_b32 v82, v10 offset:21120                          // 000000002F14: D86C5280 5200000A
	ds_read_b32 v83, v10 offset:21184                          // 000000002F1C: D86C52C0 5300000A
	ds_read_b32 v84, v10 offset:21248                          // 000000002F24: D86C5300 5400000A
	ds_read_b32 v85, v10 offset:21312                          // 000000002F2C: D86C5340 5500000A
	ds_read_b32 v86, v10 offset:21376                          // 000000002F34: D86C5380 5600000A
	ds_read_b32 v87, v10 offset:21440                          // 000000002F3C: D86C53C0 5700000A
	ds_read_b32 v88, v10 offset:21504                          // 000000002F44: D86C5400 5800000A
	ds_read_b32 v89, v10 offset:21568                          // 000000002F4C: D86C5440 5900000A
	ds_read_b32 v90, v10 offset:21632                          // 000000002F54: D86C5480 5A00000A
	ds_read_b32 v91, v10 offset:21696                          // 000000002F5C: D86C54C0 5B00000A
	ds_read_b32 v92, v10 offset:21760                          // 000000002F64: D86C5500 5C00000A
	ds_read_b32 v93, v10 offset:21824                          // 000000002F6C: D86C5540 5D00000A
	ds_read_b32 v94, v10 offset:21888                          // 000000002F74: D86C5580 5E00000A
	ds_read_b32 v95, v10 offset:21952                          // 000000002F7C: D86C55C0 5F00000A
	v_mul_f32_e32 v47, v63, v47                                // 000000002F84: 0A5E5F3F
	v_mov_b32_e32 v51, v128                                    // 000000002F88: 7E660380
	v_add_f32_e32 v51, v129, v51                               // 000000002F8C: 02666781
	v_add_f32_e32 v51, v130, v51                               // 000000002F90: 02666782
	v_add_f32_e32 v51, v131, v51                               // 000000002F94: 02666783
	v_add_f32_e32 v51, v132, v51                               // 000000002F98: 02666784
	v_add_f32_e32 v51, v133, v51                               // 000000002F9C: 02666785
	v_add_f32_e32 v51, v134, v51                               // 000000002FA0: 02666786
	v_add_f32_e32 v51, v135, v51                               // 000000002FA4: 02666787
	v_add_f32_e32 v47, v51, v47                                // 000000002FA8: 025E5F33
	s_waitcnt lgkmcnt(0)                                       // 000000002FAC: BF8CC07F
	v_max3_f32 v62, |v80|, |v81|, v62                          // 000000002FB0: D1D3033E 04FAA350
	v_max3_f32 v62, |v82|, |v83|, v62                          // 000000002FB8: D1D3033E 04FAA752
	v_max3_f32 v62, |v84|, |v85|, v62                          // 000000002FC0: D1D3033E 04FAAB54
	v_max3_f32 v62, |v86|, |v87|, v62                          // 000000002FC8: D1D3033E 04FAAF56
	v_max3_f32 v62, |v88|, |v89|, v62                          // 000000002FD0: D1D3033E 04FAB358
	v_max3_f32 v62, |v90|, |v91|, v62                          // 000000002FD8: D1D3033E 04FAB75A
	v_max3_f32 v62, |v92|, |v93|, v62                          // 000000002FE0: D1D3033E 04FABB5C
	v_max3_f32 v62, |v94|, |v95|, v62                          // 000000002FE8: D1D3033E 04FABF5E
	s_nop 2                                                    // 000000002FF0: BF800002
	v_mov_b32_dpp v41, v62 row_ror:8 row_mask:0xf bank_mask:0xf// 000000002FF4: 7E5202FA FF01283E
	v_max_f32_e32 v62, v62, v41                                // 000000002FFC: 167C533E
	v_rcp_f32_e32 v62, v62                                     // 000000003000: 7E7C453E
	s_nop 1                                                    // 000000003004: BF800001
	v_mul_f32_e32 v62, 0x42fe0000, v62                         // 000000003008: 0A7C7CFF 42FE0000
	v_mul_f32_e32 v128, v62, v240                              // 000000003010: 0B01E13E
	v_mul_f32_e32 v129, v62, v241                              // 000000003014: 0B03E33E
	v_mul_f32_e32 v130, v62, v242                              // 000000003018: 0B05E53E
	v_mul_f32_e32 v131, v62, v243                              // 00000000301C: 0B07E73E
	v_mul_f32_e32 v132, v62, v244                              // 000000003020: 0B09E93E
	v_mul_f32_e32 v133, v62, v245                              // 000000003024: 0B0BEB3E
	v_mul_f32_e32 v134, v62, v246                              // 000000003028: 0B0DED3E
	v_mul_f32_e32 v135, v62, v247                              // 00000000302C: 0B0FEF3E
	v_cvt_i32_f32_e32 v128, v128                               // 000000003030: 7F001180
	v_cvt_i32_f32_e32 v129, v129                               // 000000003034: 7F021181
	v_cvt_i32_f32_e32 v130, v130                               // 000000003038: 7F041182
	v_cvt_i32_f32_e32 v131, v131                               // 00000000303C: 7F061183
	v_cvt_i32_f32_e32 v132, v132                               // 000000003040: 7F081184
	v_cvt_i32_f32_e32 v133, v133                               // 000000003044: 7F0A1185
	v_cvt_i32_f32_e32 v134, v134                               // 000000003048: 7F0C1186
	v_cvt_i32_f32_e32 v135, v135                               // 00000000304C: 7F0E1187
	v_perm_b32 v128, v129, v128, s53                           // 000000003050: D1ED0080 00D70181
	v_perm_b32 v128, v130, v128, s54                           // 000000003058: D1ED0080 00DB0182
	v_perm_b32 v128, v131, v128, s55                           // 000000003060: D1ED0080 00DF0183
	v_perm_b32 v129, v133, v132, s53                           // 000000003068: D1ED0081 00D70985
	v_perm_b32 v129, v134, v129, s54                           // 000000003070: D1ED0081 00DB0386
	v_perm_b32 v129, v135, v129, s55                           // 000000003078: D1ED0081 00DF0387
	ds_write_b32 v13, v128 offset:25088                        // 000000003080: D81A6200 0000800D
	ds_write_b32 v13, v129 offset:26112                        // 000000003088: D81A6600 0000810D
	v_cvt_f32_i32_e32 v192, v192                               // 000000003090: 7F800BC0
	v_cvt_f32_i32_e32 v193, v193                               // 000000003094: 7F820BC1
	v_cvt_f32_i32_e32 v194, v194                               // 000000003098: 7F840BC2
	v_cvt_f32_i32_e32 v195, v195                               // 00000000309C: 7F860BC3
	v_mul_f32_e32 v192, v58, v192                              // 0000000030A0: 0B81813A
	v_mul_f32_e32 v193, v58, v193                              // 0000000030A4: 0B83833A
	v_mul_f32_e32 v194, v58, v194                              // 0000000030A8: 0B85853A
	v_mul_f32_e32 v195, v58, v195                              // 0000000030AC: 0B87873A
	v_rcp_f32_e32 v58, v62                                     // 0000000030B0: 7E74453E
	s_waitcnt lgkmcnt(0)                                       // 0000000030B4: BF8CC07F
	s_barrier                                                  // 0000000030B8: BF8A0000
	ds_read_b64 v[128:129], v12 offset:25088                   // 0000000030BC: D8EC6200 8000000C
	ds_read_b64 v[130:131], v12 offset:25216                   // 0000000030C4: D8EC6280 8200000C
	ds_read_b64 v[132:133], v12 offset:26112                   // 0000000030CC: D8EC6600 8400000C
	ds_read_b64 v[134:135], v12 offset:26240                   // 0000000030D4: D8EC6680 8600000C
	v_add_f32_e32 v224, v224, v192                             // 0000000030DC: 03C181E0
	v_add_f32_e32 v225, v225, v193                             // 0000000030E0: 03C383E1
	v_add_f32_e32 v226, v226, v194                             // 0000000030E4: 03C585E2
	v_add_f32_e32 v227, v227, v195                             // 0000000030E8: 03C787E3
	s_waitcnt lgkmcnt(3)                                       // 0000000030EC: BF8CC37F
	v_mov_b32_dpp v136, v128 row_shl:8 row_mask:0xf bank_mask:0xf bound_ctrl:1// 0000000030F0: 7F1002FA FF090880
	v_and_b32_e32 v128, v128, v9                               // 0000000030F8: 27001380
	v_mov_b32_dpp v137, v129 row_shl:8 row_mask:0xf bank_mask:0xf bound_ctrl:1// 0000000030FC: 7F1202FA FF090881
	v_and_b32_e32 v129, v129, v9                               // 000000003104: 27021381
	s_waitcnt lgkmcnt(2)                                       // 000000003108: BF8CC27F
	v_mov_b32_dpp v138, v130 row_shl:8 row_mask:0xf bank_mask:0xf bound_ctrl:1// 00000000310C: 7F1402FA FF090882
	v_and_b32_e32 v130, v130, v9                               // 000000003114: 27041382
	v_mov_b32_dpp v139, v131 row_shl:8 row_mask:0xf bank_mask:0xf bound_ctrl:1// 000000003118: 7F1602FA FF090883
	v_and_b32_e32 v131, v131, v9                               // 000000003120: 27061383
	s_waitcnt lgkmcnt(1)                                       // 000000003124: BF8CC17F
	v_mov_b32_dpp v140, v132 row_shl:8 row_mask:0xf bank_mask:0xf bound_ctrl:1// 000000003128: 7F1802FA FF090884
	v_and_b32_e32 v132, v132, v9                               // 000000003130: 27081384
	v_mov_b32_dpp v141, v133 row_shl:8 row_mask:0xf bank_mask:0xf bound_ctrl:1// 000000003134: 7F1A02FA FF090885
	v_and_b32_e32 v133, v133, v9                               // 00000000313C: 270A1385
	s_waitcnt lgkmcnt(0)                                       // 000000003140: BF8CC07F
	v_mov_b32_dpp v142, v134 row_shl:8 row_mask:0xf bank_mask:0xf bound_ctrl:1// 000000003144: 7F1C02FA FF090886
	v_and_b32_e32 v134, v134, v9                               // 00000000314C: 270C1386
	v_mov_b32_dpp v143, v135 row_shl:8 row_mask:0xf bank_mask:0xf bound_ctrl:1// 000000003150: 7F1E02FA FF090887
	v_and_b32_e32 v135, v135, v9                               // 000000003158: 270E1387
	s_waitcnt vmcnt(15)                                        // 00000000315C: BF8C0F7F
	v_mfma_i32_16x16x32_i8 v[192:195], a[64:65], v[128:129], 0 // 000000003160: D3D700C0 0A030140
	v_mfma_i32_16x16x32_i8 v[192:195], a[66:67], v[130:131], v[192:195]// 000000003168: D3D700C0 0F030542
	buffer_load_dwordx4 a[112:115], v37, s[20:23], 0 offen offset:1024// 000000003170: E05C1400 80857025
	v_mfma_i32_16x16x32_i8 v[192:195], a[68:69], v[132:133], v[192:195]// 000000003178: D3D700C0 0F030944
	v_mfma_i32_16x16x32_i8 v[192:195], a[70:71], v[134:135], v[192:195]// 000000003180: D3D700C0 0F030D46
	v_mfma_i32_16x16x32_i8 v[192:195], a[72:73], v[136:137], v[192:195]// 000000003188: D3D700C0 0F031148
	v_mfma_i32_16x16x32_i8 v[192:195], a[74:75], v[138:139], v[192:195]// 000000003190: D3D700C0 0F03154A
	buffer_load_dwordx4 a[116:119], v38, s[20:23], 0 offen offset:1024// 000000003198: E05C1400 80857426
	v_mfma_i32_16x16x32_i8 v[192:195], a[76:77], v[140:141], v[192:195]// 0000000031A0: D3D700C0 0F03194C
	v_mfma_i32_16x16x32_i8 v[192:195], a[78:79], v[142:143], v[192:195]// 0000000031A8: D3D700C0 0F031D4E
	v_mfma_i32_16x16x32_i8 v[196:199], a[80:81], v[128:129], 0 // 0000000031B0: D3D700C4 0A030150
	v_mfma_i32_16x16x32_i8 v[196:199], a[82:83], v[130:131], v[196:199]// 0000000031B8: D3D700C4 0F130552
	buffer_load_dwordx4 a[120:123], v39, s[20:23], 0 offen offset:1024// 0000000031C0: E05C1400 80857827
	v_mfma_i32_16x16x32_i8 v[196:199], a[84:85], v[132:133], v[196:199]// 0000000031C8: D3D700C4 0F130954
	v_mfma_i32_16x16x32_i8 v[196:199], a[86:87], v[134:135], v[196:199]// 0000000031D0: D3D700C4 0F130D56
	v_mfma_i32_16x16x32_i8 v[196:199], a[88:89], v[136:137], v[196:199]// 0000000031D8: D3D700C4 0F131158
	v_mfma_i32_16x16x32_i8 v[196:199], a[90:91], v[138:139], v[196:199]// 0000000031E0: D3D700C4 0F13155A
	buffer_load_dwordx4 a[124:127], v40, s[20:23], 0 offen offset:1024// 0000000031E8: E05C1400 80857C28
	v_mfma_i32_16x16x32_i8 v[196:199], a[92:93], v[140:141], v[196:199]// 0000000031F0: D3D700C4 0F13195C
	s_lshr_b32 s57, s70, 4                                     // 0000000031F8: 8F398446
	s_add_u32 s57, 48, s57                                     // 0000000031FC: 803939B0
	v_mfma_i32_16x16x32_i8 v[196:199], a[94:95], v[142:143], v[196:199]// 000000003200: D3D700C4 0F131D5E
	s_cmp_ge_u32 s57, s73                                      // 000000003208: BF094939
	s_cselect_b32 s56, 0, s56                                  // 00000000320C: 85383880
	v_add_u32_e32 v1, s56, v1                                  // 000000003210: 68020238
	s_addk_i32 s70, 0x100                                      // 000000003214: B7460100
	s_cmp_lt_i32 s70, s71                                      // 000000003218: BF044746
	s_cbranch_scc0 label_05FB                                  // 00000000321C: BF8401F3
	s_waitcnt vmcnt(8) lgkmcnt(0)                              // 000000003220: BF8C0078
	v_mul_u32_u24_dpp v41, v19, v68 row_newbcast:0 row_mask:0xf bank_mask:0xf// 000000003224: 105288FA FF015013
	v_mul_u32_u24_dpp v42, v19, v68 row_newbcast:4 row_mask:0xf bank_mask:0xf// 00000000322C: 105488FA FF015413
	v_mul_u32_u24_dpp v43, v19, v68 row_newbcast:8 row_mask:0xf bank_mask:0xf// 000000003234: 105688FA FF015813
	v_mul_u32_u24_dpp v44, v19, v68 row_newbcast:12 row_mask:0xf bank_mask:0xf// 00000000323C: 105888FA FF015C13
	v_add_u32_e32 v25, v41, v6                                 // 000000003244: 68320D29
	v_add_u32_e32 v26, v42, v6                                 // 000000003248: 68340D2A
	v_add_u32_e32 v27, v43, v6                                 // 00000000324C: 68360D2B
	v_add_u32_e32 v28, v44, v6                                 // 000000003250: 68380D2C
	v_mul_u32_u24_dpp v41, v19, v78 quad_perm:[0,0,0,0] row_mask:0xf bank_mask:0xf// 000000003254: 10529CFA FF000013
	v_add_u32_e32 v2, v41, v74                                 // 00000000325C: 68049529
	v_mul_u32_u24_dpp v41, v19, v78 quad_perm:[0,0,0,0] row_mask:0xf bank_mask:0xf// 000000003260: 10529CFA FF000013
	v_add_u32_e32 v70, v41, v75                                // 000000003268: 688C9729
	v_mfma_i32_16x16x32_i8 v[128:131], a[32:33], v[96:97], 0   // 00000000326C: D3D70080 0A02C120
	v_mfma_i32_16x16x32_i8 v[128:131], a[34:35], v[98:99], v[128:131]// 000000003274: D3D70080 0E02C522
	buffer_load_dwordx4 a[0:3], v25, s[16:19], 0 offen         // 00000000327C: E05C1000 80840019
	v_mfma_i32_16x16x32_i8 v[128:131], a[36:37], v[100:101], v[128:131]// 000000003284: D3D70080 0E02C924
	v_mfma_i32_16x16x32_i8 v[128:131], a[38:39], v[102:103], v[128:131]// 00000000328C: D3D70080 0E02CD26
	buffer_load_dword v20, v1, s[24:27], 0 offen               // 000000003294: E0501000 80061401
	v_mfma_i32_16x16x32_i8 v[132:135], a[40:41], v[96:97], 0   // 00000000329C: D3D70084 0A02C128
	v_mfma_i32_16x16x32_i8 v[132:135], a[42:43], v[98:99], v[132:135]// 0000000032A4: D3D70084 0E12C52A
	buffer_load_dwordx4 a[4:7], v25, s[16:19], 0 offen offset:1024// 0000000032AC: E05C1400 80840419
	v_mfma_i32_16x16x32_i8 v[132:135], a[44:45], v[100:101], v[132:135]// 0000000032B4: D3D70084 0E12C92C
	v_mfma_i32_16x16x32_i8 v[132:135], a[46:47], v[102:103], v[132:135]// 0000000032BC: D3D70084 0E12CD2E
	v_mfma_i32_16x16x32_i8 v[136:139], a[48:49], v[96:97], 0   // 0000000032C4: D3D70088 0A02C130
	v_mfma_i32_16x16x32_i8 v[136:139], a[50:51], v[98:99], v[136:139]// 0000000032CC: D3D70088 0E22C532
	buffer_load_dwordx4 a[8:11], v26, s[16:19], 0 offen        // 0000000032D4: E05C1000 8084081A
	v_mfma_i32_16x16x32_i8 v[136:139], a[52:53], v[100:101], v[136:139]// 0000000032DC: D3D70088 0E22C934
	v_mfma_i32_16x16x32_i8 v[136:139], a[54:55], v[102:103], v[136:139]// 0000000032E4: D3D70088 0E22CD36
	v_mfma_i32_16x16x32_i8 v[140:143], a[56:57], v[96:97], 0   // 0000000032EC: D3D7008C 0A02C138
	v_mfma_i32_16x16x32_i8 v[140:143], a[58:59], v[98:99], v[140:143]// 0000000032F4: D3D7008C 0E32C53A
	buffer_load_dwordx4 a[12:15], v26, s[16:19], 0 offen offset:1024// 0000000032FC: E05C1400 80840C1A
	v_mfma_i32_16x16x32_i8 v[140:143], a[60:61], v[100:101], v[140:143]// 000000003304: D3D7008C 0E32C93C
	v_mfma_i32_16x16x32_i8 v[140:143], a[62:63], v[102:103], v[140:143]// 00000000330C: D3D7008C 0E32CD3E
	buffer_load_dword v52, v2, s[32:35], 0 offen               // 000000003314: E0501000 80083402
	v_mov_b32_dpp v41, v53 row_shr:4 row_mask:0xf bank_mask:0xf// 00000000331C: 7E5202FA FF011435
	v_mov_b32_dpp v42, v53 row_shl:4 row_mask:0xf bank_mask:0xf// 000000003324: 7E5402FA FF010435
	v_cndmask_b32_e64 v248, v53, v41, s[44:45]                 // 00000000332C: D10000F8 00B25335
	v_cndmask_b32_e64 v249, v42, v53, s[44:45]                 // 000000003334: D10000F9 00B26B2A
	v_mov_b32_dpp v41, v73 row_shr:4 row_mask:0xf bank_mask:0xf// 00000000333C: 7E5202FA FF011449
	v_mov_b32_dpp v42, v73 row_shl:4 row_mask:0xf bank_mask:0xf// 000000003344: 7E5402FA FF010449
	v_cndmask_b32_e64 v252, v73, v41, s[44:45]                 // 00000000334C: D10000FC 00B25349
	v_cndmask_b32_e64 v253, v42, v73, s[44:45]                 // 000000003354: D10000FD 00B2932A
	v_or_b32_dpp v128, v136, v128 row_shr:8 row_mask:0xf bank_mask:0xf bound_ctrl:1// 00000000335C: 290100FA FF091888
	v_or_b32_dpp v129, v137, v129 row_shr:8 row_mask:0xf bank_mask:0xf bound_ctrl:1// 000000003364: 290302FA FF091889
	v_or_b32_dpp v130, v138, v130 row_shr:8 row_mask:0xf bank_mask:0xf bound_ctrl:1// 00000000336C: 290504FA FF09188A
	v_or_b32_dpp v131, v139, v131 row_shr:8 row_mask:0xf bank_mask:0xf bound_ctrl:1// 000000003374: 290706FA FF09188B
	v_or_b32_dpp v132, v140, v132 row_shr:8 row_mask:0xf bank_mask:0xf bound_ctrl:1// 00000000337C: 290908FA FF09188C
	v_or_b32_dpp v133, v141, v133 row_shr:8 row_mask:0xf bank_mask:0xf bound_ctrl:1// 000000003384: 290B0AFA FF09188D
	v_or_b32_dpp v134, v142, v134 row_shr:8 row_mask:0xf bank_mask:0xf bound_ctrl:1// 00000000338C: 290D0CFA FF09188E
	v_or_b32_dpp v135, v143, v135 row_shr:8 row_mask:0xf bank_mask:0xf bound_ctrl:1// 000000003394: 290F0EFA FF09188F
	buffer_load_dword v72, v70, s[36:39], 0 offen              // 00000000339C: E0501000 80094846
	v_cvt_f32_i32_e32 v128, v128                               // 0000000033A4: 7F000B80
	v_cvt_f32_i32_e32 v129, v129                               // 0000000033A8: 7F020B81
	v_cvt_f32_i32_e32 v130, v130                               // 0000000033AC: 7F040B82
	v_cvt_f32_i32_e32 v131, v131                               // 0000000033B0: 7F060B83
	v_cvt_f32_i32_e32 v132, v132                               // 0000000033B4: 7F080B84
	v_cvt_f32_i32_e32 v133, v133                               // 0000000033B8: 7F0A0B85
	v_cvt_f32_i32_e32 v134, v134                               // 0000000033BC: 7F0C0B86
	v_cvt_f32_i32_e32 v135, v135                               // 0000000033C0: 7F0E0B87
	v_mul_f32_e32 v128, v54, v128                              // 0000000033C4: 0B010136
	v_mul_f32_e32 v129, v54, v129                              // 0000000033C8: 0B030336
	v_mul_f32_e32 v130, v54, v130                              // 0000000033CC: 0B050536
	v_mul_f32_e32 v131, v54, v131                              // 0000000033D0: 0B070736
	v_mul_f32_e32 v132, v54, v132                              // 0000000033D4: 0B090936
	v_mul_f32_e32 v133, v54, v133                              // 0000000033D8: 0B0B0B36
	v_mul_f32_e32 v134, v54, v134                              // 0000000033DC: 0B0D0D36
	v_mul_f32_e32 v135, v54, v135                              // 0000000033E0: 0B0F0F36
	buffer_load_dwordx4 a[16:19], v27, s[16:19], 0 offen       // 0000000033E4: E05C1000 8084101B
	v_mul_f32_dpp v128, v248, v128 quad_perm:[0,0,0,0] row_mask:0xf bank_mask:0xf// 0000000033EC: 0B0100FA FF0000F8
	v_mul_f32_dpp v129, v248, v129 quad_perm:[1,1,1,1] row_mask:0xf bank_mask:0xf// 0000000033F4: 0B0302FA FF0055F8
	v_mul_f32_dpp v130, v248, v130 quad_perm:[2,2,2,2] row_mask:0xf bank_mask:0xf// 0000000033FC: 0B0504FA FF00AAF8
	v_mul_f32_dpp v131, v248, v131 quad_perm:[3,3,3,3] row_mask:0xf bank_mask:0xf// 000000003404: 0B0706FA FF00FFF8
	v_mul_f32_dpp v132, v249, v132 quad_perm:[0,0,0,0] row_mask:0xf bank_mask:0xf// 00000000340C: 0B0908FA FF0000F9
	v_mul_f32_dpp v133, v249, v133 quad_perm:[1,1,1,1] row_mask:0xf bank_mask:0xf// 000000003414: 0B0B0AFA FF0055F9
	v_mul_f32_dpp v134, v249, v134 quad_perm:[2,2,2,2] row_mask:0xf bank_mask:0xf// 00000000341C: 0B0D0CFA FF00AAF9
	v_mul_f32_dpp v135, v249, v135 quad_perm:[3,3,3,3] row_mask:0xf bank_mask:0xf// 000000003424: 0B0F0EFA FF00FFF9
	buffer_load_dwordx4 a[20:23], v27, s[16:19], 0 offen offset:1024// 00000000342C: E05C1400 8084141B
	v_mov_b32_e32 v62, v128                                    // 000000003434: 7E7C0380
	v_max3_f32 v62, v128, v129, v62                            // 000000003438: D1D3003E 04FB0380
	v_max3_f32 v62, v130, v131, v62                            // 000000003440: D1D3003E 04FB0782
	v_max3_f32 v62, v132, v133, v62                            // 000000003448: D1D3003E 04FB0B84
	v_max3_f32 v62, v134, v135, v62                            // 000000003450: D1D3003E 04FB0F86
	ds_write_b32 v11, v62 offset:16896                         // 000000003458: D81A4200 00003E0B
	buffer_load_dwordx4 a[24:27], v28, s[16:19], 0 offen       // 000000003460: E05C1000 8084181C
	v_mul_u32_u24_dpp v41, v19, v68 row_newbcast:1 row_mask:0xf bank_mask:0xf// 000000003468: 105288FA FF015113
	v_mul_u32_u24_dpp v42, v19, v68 row_newbcast:5 row_mask:0xf bank_mask:0xf// 000000003470: 105488FA FF015513
	v_mul_u32_u24_dpp v43, v19, v68 row_newbcast:9 row_mask:0xf bank_mask:0xf// 000000003478: 105688FA FF015913
	v_mul_u32_u24_dpp v44, v19, v68 row_newbcast:13 row_mask:0xf bank_mask:0xf// 000000003480: 105888FA FF015D13
	v_add_u32_e32 v33, v41, v7                                 // 000000003488: 68420F29
	v_add_u32_e32 v34, v42, v7                                 // 00000000348C: 68440F2A
	v_add_u32_e32 v35, v43, v7                                 // 000000003490: 68460F2B
	v_add_u32_e32 v36, v44, v7                                 // 000000003494: 68480F2C
	s_waitcnt lgkmcnt(0)                                       // 000000003498: BF8CC07F
	s_barrier                                                  // 00000000349C: BF8A0000
	ds_read_b32 v80, v10 offset:16896                          // 0000000034A0: D86C4200 5000000A
	ds_read_b32 v81, v10 offset:16960                          // 0000000034A8: D86C4240 5100000A
	ds_read_b32 v82, v10 offset:17024                          // 0000000034B0: D86C4280 5200000A
	ds_read_b32 v83, v10 offset:17088                          // 0000000034B8: D86C42C0 5300000A
	ds_read_b32 v84, v10 offset:17152                          // 0000000034C0: D86C4300 5400000A
	ds_read_b32 v85, v10 offset:17216                          // 0000000034C8: D86C4340 5500000A
	ds_read_b32 v86, v10 offset:17280                          // 0000000034D0: D86C4380 5600000A
	ds_read_b32 v87, v10 offset:17344                          // 0000000034D8: D86C43C0 5700000A
	ds_read_b32 v88, v10 offset:17408                          // 0000000034E0: D86C4400 5800000A
	ds_read_b32 v89, v10 offset:17472                          // 0000000034E8: D86C4440 5900000A
	ds_read_b32 v90, v10 offset:17536                          // 0000000034F0: D86C4480 5A00000A
	ds_read_b32 v91, v10 offset:17600                          // 0000000034F8: D86C44C0 5B00000A
	ds_read_b32 v92, v10 offset:17664                          // 000000003500: D86C4500 5C00000A
	ds_read_b32 v93, v10 offset:17728                          // 000000003508: D86C4540 5D00000A
	ds_read_b32 v94, v10 offset:17792                          // 000000003510: D86C4580 5E00000A
	ds_read_b32 v95, v10 offset:17856                          // 000000003518: D86C45C0 5F00000A
	buffer_load_dwordx4 a[28:31], v28, s[16:19], 0 offen offset:1024// 000000003520: E05C1400 80841C1C
	v_mul_f32_e32 v224, v63, v224                              // 000000003528: 0BC1C13F
	v_mul_f32_e32 v225, v63, v225                              // 00000000352C: 0BC3C33F
	v_mul_f32_e32 v226, v63, v226                              // 000000003530: 0BC5C53F
	v_mul_f32_e32 v227, v63, v227                              // 000000003534: 0BC7C73F
	v_or_b32_dpp v192, v196, v192 row_shr:8 row_mask:0xf bank_mask:0xf bound_ctrl:1// 000000003538: 298180FA FF0918C4
	v_or_b32_dpp v193, v197, v193 row_shr:8 row_mask:0xf bank_mask:0xf bound_ctrl:1// 000000003540: 298382FA FF0918C5
	v_or_b32_dpp v194, v198, v194 row_shr:8 row_mask:0xf bank_mask:0xf bound_ctrl:1// 000000003548: 298584FA FF0918C6
	v_or_b32_dpp v195, v199, v195 row_shr:8 row_mask:0xf bank_mask:0xf bound_ctrl:1// 000000003550: 298786FA FF0918C7
	s_waitcnt lgkmcnt(0)                                       // 000000003558: BF8CC07F
	v_max3_f32 v62, v80, v81, v62                              // 00000000355C: D1D3003E 04FAA350
	v_max3_f32 v62, v82, v83, v62                              // 000000003564: D1D3003E 04FAA752
	v_max3_f32 v62, v84, v85, v62                              // 00000000356C: D1D3003E 04FAAB54
	v_max3_f32 v62, v86, v87, v62                              // 000000003574: D1D3003E 04FAAF56
	v_max3_f32 v62, v88, v89, v62                              // 00000000357C: D1D3003E 04FAB358
	v_max3_f32 v62, v90, v91, v62                              // 000000003584: D1D3003E 04FAB75A
	v_max3_f32 v62, v92, v93, v62                              // 00000000358C: D1D3003E 04FABB5C
	v_max3_f32 v62, v94, v95, v62                              // 000000003594: D1D3003E 04FABF5E
	buffer_load_dwordx4 a[64:67], v33, s[20:23], 0 offen       // 00000000359C: E05C1000 80854021
	v_cmp_eq_u32_e64 s[40:41], v69, v14                        // 0000000035A4: D0CA0028 00021D45
	s_nop 1                                                    // 0000000035AC: BF800001
	v_mov_b32_dpp v41, v62 row_ror:8 row_mask:0xf bank_mask:0xf// 0000000035B0: 7E5202FA FF01283E
	v_max_f32_e32 v62, v62, v41                                // 0000000035B8: 167C533E
	v_max_f32_e32 v18, v62, v14                                // 0000000035BC: 16241D3E
	v_mul_f32_e32 v67, s64, v18                                // 0000000035C0: 0A862440
	v_fma_f32 v128, v128, s64, -v67                            // 0000000035C4: D1CB0080 850C8180
	v_fma_f32 v129, v129, s64, -v67                            // 0000000035CC: D1CB0081 850C8181
	v_fma_f32 v130, v130, s64, -v67                            // 0000000035D4: D1CB0082 850C8182
	v_fma_f32 v131, v131, s64, -v67                            // 0000000035DC: D1CB0083 850C8183
	v_fma_f32 v132, v132, s64, -v67                            // 0000000035E4: D1CB0084 850C8184
	v_fma_f32 v133, v133, s64, -v67                            // 0000000035EC: D1CB0085 850C8185
	v_fma_f32 v134, v134, s64, -v67                            // 0000000035F4: D1CB0086 850C8186
	v_fma_f32 v135, v135, s64, -v67                            // 0000000035FC: D1CB0087 850C8187
	buffer_load_dwordx4 a[68:71], v34, s[20:23], 0 offen       // 000000003604: E05C1000 80854422
	v_exp_f32_e32 v128, v128                                   // 00000000360C: 7F004180
	v_exp_f32_e32 v129, v129                                   // 000000003610: 7F024181
	v_exp_f32_e32 v130, v130                                   // 000000003614: 7F044182
	v_exp_f32_e32 v131, v131                                   // 000000003618: 7F064183
	v_exp_f32_e32 v132, v132                                   // 00000000361C: 7F084184
	v_exp_f32_e32 v133, v133                                   // 000000003620: 7F0A4185
	v_exp_f32_e32 v134, v134                                   // 000000003624: 7F0C4186
	v_exp_f32_e32 v135, v135                                   // 000000003628: 7F0E4187
	buffer_load_dwordx4 a[72:75], v35, s[20:23], 0 offen       // 00000000362C: E05C1000 80854823
	v_mul_f32_dpp v240, v252, v128 quad_perm:[0,0,0,0] row_mask:0xf bank_mask:0xf// 000000003634: 0BE100FA FF0000FC
	v_mul_f32_dpp v241, v252, v129 quad_perm:[1,1,1,1] row_mask:0xf bank_mask:0xf// 00000000363C: 0BE302FA FF0055FC
	v_mul_f32_dpp v242, v252, v130 quad_perm:[2,2,2,2] row_mask:0xf bank_mask:0xf// 000000003644: 0BE504FA FF00AAFC
	v_mul_f32_dpp v243, v252, v131 quad_perm:[3,3,3,3] row_mask:0xf bank_mask:0xf// 00000000364C: 0BE706FA FF00FFFC
	v_mul_f32_dpp v244, v253, v132 quad_perm:[0,0,0,0] row_mask:0xf bank_mask:0xf// 000000003654: 0BE908FA FF0000FD
	v_mul_f32_dpp v245, v253, v133 quad_perm:[1,1,1,1] row_mask:0xf bank_mask:0xf// 00000000365C: 0BEB0AFA FF0055FD
	v_mul_f32_dpp v246, v253, v134 quad_perm:[2,2,2,2] row_mask:0xf bank_mask:0xf// 000000003664: 0BED0CFA FF00AAFD
	v_mul_f32_dpp v247, v253, v135 quad_perm:[3,3,3,3] row_mask:0xf bank_mask:0xf// 00000000366C: 0BEF0EFA FF00FFFD
	v_mov_b32_e32 v62, 0x358637bd                              // 000000003674: 7E7C02FF 358637BD
	v_max3_f32 v62, |v240|, |v241|, v62                        // 00000000367C: D1D3033E 04FBE3F0
	v_max3_f32 v62, |v242|, |v243|, v62                        // 000000003684: D1D3033E 04FBE7F2
	v_max3_f32 v62, |v244|, |v245|, v62                        // 00000000368C: D1D3033E 04FBEBF4
	v_max3_f32 v62, |v246|, |v247|, v62                        // 000000003694: D1D3033E 04FBEFF6
	buffer_load_dwordx4 a[76:79], v36, s[20:23], 0 offen       // 00000000369C: E05C1000 80854C24
	ds_write_b32 v11, v62 offset:20992                         // 0000000036A4: D81A5200 00003E0B
	v_sub_f32_e32 v63, v14, v18                                // 0000000036AC: 047E250E
	v_cndmask_b32_e64 v63, v63, 0, s[40:41]                    // 0000000036B0: D100003F 00A1013F
	v_mov_b32_e32 v14, v18                                     // 0000000036B8: 7E1C0312
	v_mul_f32_e32 v63, s64, v63                                // 0000000036BC: 0A7E7E40
	v_exp_f32_e32 v63, v63                                     // 0000000036C0: 7E7E413F
	s_waitcnt lgkmcnt(0)                                       // 0000000036C4: BF8CC07F
	s_barrier                                                  // 0000000036C8: BF8A0000
	ds_read_b32 v80, v10 offset:20992                          // 0000000036CC: D86C5200 5000000A
	ds_read_b32 v81, v10 offset:21056                          // 0000000036D4: D86C5240 5100000A
	ds_read_b32 v82, v10 offset:21120                          // 0000000036DC: D86C5280 5200000A
	ds_read_b32 v83, v10 offset:21184                          // 0000000036E4: D86C52C0 5300000A
	ds_read_b32 v84, v10 offset:21248                          // 0000000036EC: D86C5300 5400000A
	ds_read_b32 v85, v10 offset:21312                          // 0000000036F4: D86C5340 5500000A
	ds_read_b32 v86, v10 offset:21376                          // 0000000036FC: D86C5380 5600000A
	ds_read_b32 v87, v10 offset:21440                          // 000000003704: D86C53C0 5700000A
	ds_read_b32 v88, v10 offset:21504                          // 00000000370C: D86C5400 5800000A
	ds_read_b32 v89, v10 offset:21568                          // 000000003714: D86C5440 5900000A
	ds_read_b32 v90, v10 offset:21632                          // 00000000371C: D86C5480 5A00000A
	ds_read_b32 v91, v10 offset:21696                          // 000000003724: D86C54C0 5B00000A
	ds_read_b32 v92, v10 offset:21760                          // 00000000372C: D86C5500 5C00000A
	ds_read_b32 v93, v10 offset:21824                          // 000000003734: D86C5540 5D00000A
	ds_read_b32 v94, v10 offset:21888                          // 00000000373C: D86C5580 5E00000A
	ds_read_b32 v95, v10 offset:21952                          // 000000003744: D86C55C0 5F00000A
	v_mul_f32_e32 v47, v63, v47                                // 00000000374C: 0A5E5F3F
	v_mov_b32_e32 v51, v128                                    // 000000003750: 7E660380
	v_add_f32_e32 v51, v129, v51                               // 000000003754: 02666781
	v_add_f32_e32 v51, v130, v51                               // 000000003758: 02666782
	v_add_f32_e32 v51, v131, v51                               // 00000000375C: 02666783
	v_add_f32_e32 v51, v132, v51                               // 000000003760: 02666784
	v_add_f32_e32 v51, v133, v51                               // 000000003764: 02666785
	;; [unrolled: 1-line block ×3, first 2 shown]
	v_add_f32_e32 v51, v135, v51                               // 00000000376C: 02666787
	v_add_f32_e32 v47, v51, v47                                // 000000003770: 025E5F33
	s_waitcnt lgkmcnt(0)                                       // 000000003774: BF8CC07F
	v_max3_f32 v62, |v80|, |v81|, v62                          // 000000003778: D1D3033E 04FAA350
	v_max3_f32 v62, |v82|, |v83|, v62                          // 000000003780: D1D3033E 04FAA752
	v_max3_f32 v62, |v84|, |v85|, v62                          // 000000003788: D1D3033E 04FAAB54
	v_max3_f32 v62, |v86|, |v87|, v62                          // 000000003790: D1D3033E 04FAAF56
	v_max3_f32 v62, |v88|, |v89|, v62                          // 000000003798: D1D3033E 04FAB358
	v_max3_f32 v62, |v90|, |v91|, v62                          // 0000000037A0: D1D3033E 04FAB75A
	v_max3_f32 v62, |v92|, |v93|, v62                          // 0000000037A8: D1D3033E 04FABB5C
	v_max3_f32 v62, |v94|, |v95|, v62                          // 0000000037B0: D1D3033E 04FABF5E
	s_nop 2                                                    // 0000000037B8: BF800002
	v_mov_b32_dpp v41, v62 row_ror:8 row_mask:0xf bank_mask:0xf// 0000000037BC: 7E5202FA FF01283E
	v_max_f32_e32 v62, v62, v41                                // 0000000037C4: 167C533E
	v_rcp_f32_e32 v62, v62                                     // 0000000037C8: 7E7C453E
	s_nop 1                                                    // 0000000037CC: BF800001
	v_mul_f32_e32 v62, 0x42fe0000, v62                         // 0000000037D0: 0A7C7CFF 42FE0000
	v_mul_f32_e32 v128, v62, v240                              // 0000000037D8: 0B01E13E
	v_mul_f32_e32 v129, v62, v241                              // 0000000037DC: 0B03E33E
	v_mul_f32_e32 v130, v62, v242                              // 0000000037E0: 0B05E53E
	v_mul_f32_e32 v131, v62, v243                              // 0000000037E4: 0B07E73E
	v_mul_f32_e32 v132, v62, v244                              // 0000000037E8: 0B09E93E
	v_mul_f32_e32 v133, v62, v245                              // 0000000037EC: 0B0BEB3E
	v_mul_f32_e32 v134, v62, v246                              // 0000000037F0: 0B0DED3E
	v_mul_f32_e32 v135, v62, v247                              // 0000000037F4: 0B0FEF3E
	v_cvt_i32_f32_e32 v128, v128                               // 0000000037F8: 7F001180
	v_cvt_i32_f32_e32 v129, v129                               // 0000000037FC: 7F021181
	v_cvt_i32_f32_e32 v130, v130                               // 000000003800: 7F041182
	v_cvt_i32_f32_e32 v131, v131                               // 000000003804: 7F061183
	v_cvt_i32_f32_e32 v132, v132                               // 000000003808: 7F081184
	v_cvt_i32_f32_e32 v133, v133                               // 00000000380C: 7F0A1185
	v_cvt_i32_f32_e32 v134, v134                               // 000000003810: 7F0C1186
	v_cvt_i32_f32_e32 v135, v135                               // 000000003814: 7F0E1187
	v_perm_b32 v128, v129, v128, s53                           // 000000003818: D1ED0080 00D70181
	v_perm_b32 v128, v130, v128, s54                           // 000000003820: D1ED0080 00DB0182
	v_perm_b32 v128, v131, v128, s55                           // 000000003828: D1ED0080 00DF0183
	v_perm_b32 v129, v133, v132, s53                           // 000000003830: D1ED0081 00D70985
	v_perm_b32 v129, v134, v129, s54                           // 000000003838: D1ED0081 00DB0386
	v_perm_b32 v129, v135, v129, s55                           // 000000003840: D1ED0081 00DF0387
	ds_write_b32 v13, v128 offset:25088                        // 000000003848: D81A6200 0000800D
	ds_write_b32 v13, v129 offset:26112                        // 000000003850: D81A6600 0000810D
	v_cvt_f32_i32_e32 v192, v192                               // 000000003858: 7F800BC0
	v_cvt_f32_i32_e32 v193, v193                               // 00000000385C: 7F820BC1
	v_cvt_f32_i32_e32 v194, v194                               // 000000003860: 7F840BC2
	v_cvt_f32_i32_e32 v195, v195                               // 000000003864: 7F860BC3
	v_mul_f32_e32 v192, v58, v192                              // 000000003868: 0B81813A
	v_mul_f32_e32 v193, v58, v193                              // 00000000386C: 0B83833A
	v_mul_f32_e32 v194, v58, v194                              // 000000003870: 0B85853A
	v_mul_f32_e32 v195, v58, v195                              // 000000003874: 0B87873A
	v_rcp_f32_e32 v58, v62                                     // 000000003878: 7E74453E
	s_waitcnt lgkmcnt(0)                                       // 00000000387C: BF8CC07F
	s_barrier                                                  // 000000003880: BF8A0000
	ds_read_b64 v[128:129], v12 offset:25088                   // 000000003884: D8EC6200 8000000C
	ds_read_b64 v[130:131], v12 offset:25216                   // 00000000388C: D8EC6280 8200000C
	ds_read_b64 v[132:133], v12 offset:26112                   // 000000003894: D8EC6600 8400000C
	ds_read_b64 v[134:135], v12 offset:26240                   // 00000000389C: D8EC6680 8600000C
	v_add_f32_e32 v224, v224, v192                             // 0000000038A4: 03C181E0
	v_add_f32_e32 v225, v225, v193                             // 0000000038A8: 03C383E1
	v_add_f32_e32 v226, v226, v194                             // 0000000038AC: 03C585E2
	v_add_f32_e32 v227, v227, v195                             // 0000000038B0: 03C787E3
	s_waitcnt lgkmcnt(3)                                       // 0000000038B4: BF8CC37F
	v_mov_b32_dpp v136, v128 row_shl:8 row_mask:0xf bank_mask:0xf bound_ctrl:1// 0000000038B8: 7F1002FA FF090880
	v_and_b32_e32 v128, v128, v9                               // 0000000038C0: 27001380
	v_mov_b32_dpp v137, v129 row_shl:8 row_mask:0xf bank_mask:0xf bound_ctrl:1// 0000000038C4: 7F1202FA FF090881
	v_and_b32_e32 v129, v129, v9                               // 0000000038CC: 27021381
	s_waitcnt lgkmcnt(2)                                       // 0000000038D0: BF8CC27F
	v_mov_b32_dpp v138, v130 row_shl:8 row_mask:0xf bank_mask:0xf bound_ctrl:1// 0000000038D4: 7F1402FA FF090882
	v_and_b32_e32 v130, v130, v9                               // 0000000038DC: 27041382
	v_mov_b32_dpp v139, v131 row_shl:8 row_mask:0xf bank_mask:0xf bound_ctrl:1// 0000000038E0: 7F1602FA FF090883
	v_and_b32_e32 v131, v131, v9                               // 0000000038E8: 27061383
	s_waitcnt lgkmcnt(1)                                       // 0000000038EC: BF8CC17F
	v_mov_b32_dpp v140, v132 row_shl:8 row_mask:0xf bank_mask:0xf bound_ctrl:1// 0000000038F0: 7F1802FA FF090884
	v_and_b32_e32 v132, v132, v9                               // 0000000038F8: 27081384
	v_mov_b32_dpp v141, v133 row_shl:8 row_mask:0xf bank_mask:0xf bound_ctrl:1// 0000000038FC: 7F1A02FA FF090885
	v_and_b32_e32 v133, v133, v9                               // 000000003904: 270A1385
	s_waitcnt lgkmcnt(0)                                       // 000000003908: BF8CC07F
	v_mov_b32_dpp v142, v134 row_shl:8 row_mask:0xf bank_mask:0xf bound_ctrl:1// 00000000390C: 7F1C02FA FF090886
	v_and_b32_e32 v134, v134, v9                               // 000000003914: 270C1386
	v_mov_b32_dpp v143, v135 row_shl:8 row_mask:0xf bank_mask:0xf bound_ctrl:1// 000000003918: 7F1E02FA FF090887
	v_and_b32_e32 v135, v135, v9                               // 000000003920: 270E1387
	s_waitcnt vmcnt(15)                                        // 000000003924: BF8C0F7F
	v_mfma_i32_16x16x32_i8 v[192:195], a[96:97], v[128:129], 0 // 000000003928: D3D700C0 0A030160
	v_mfma_i32_16x16x32_i8 v[192:195], a[98:99], v[130:131], v[192:195]// 000000003930: D3D700C0 0F030562
	buffer_load_dwordx4 a[80:83], v33, s[20:23], 0 offen offset:1024// 000000003938: E05C1400 80855021
	v_mfma_i32_16x16x32_i8 v[192:195], a[100:101], v[132:133], v[192:195]// 000000003940: D3D700C0 0F030964
	v_mfma_i32_16x16x32_i8 v[192:195], a[102:103], v[134:135], v[192:195]// 000000003948: D3D700C0 0F030D66
	v_mfma_i32_16x16x32_i8 v[192:195], a[104:105], v[136:137], v[192:195]// 000000003950: D3D700C0 0F031168
	v_mfma_i32_16x16x32_i8 v[192:195], a[106:107], v[138:139], v[192:195]// 000000003958: D3D700C0 0F03156A
	buffer_load_dwordx4 a[84:87], v34, s[20:23], 0 offen offset:1024// 000000003960: E05C1400 80855422
	v_mfma_i32_16x16x32_i8 v[192:195], a[108:109], v[140:141], v[192:195]// 000000003968: D3D700C0 0F03196C
	v_mfma_i32_16x16x32_i8 v[192:195], a[110:111], v[142:143], v[192:195]// 000000003970: D3D700C0 0F031D6E
	v_mfma_i32_16x16x32_i8 v[196:199], a[112:113], v[128:129], 0// 000000003978: D3D700C4 0A030170
	v_mfma_i32_16x16x32_i8 v[196:199], a[114:115], v[130:131], v[196:199]// 000000003980: D3D700C4 0F130572
	buffer_load_dwordx4 a[88:91], v35, s[20:23], 0 offen offset:1024// 000000003988: E05C1400 80855823
	v_mfma_i32_16x16x32_i8 v[196:199], a[116:117], v[132:133], v[196:199]// 000000003990: D3D700C4 0F130974
	v_mfma_i32_16x16x32_i8 v[196:199], a[118:119], v[134:135], v[196:199]// 000000003998: D3D700C4 0F130D76
	v_mfma_i32_16x16x32_i8 v[196:199], a[120:121], v[136:137], v[196:199]// 0000000039A0: D3D700C4 0F131178
	v_mfma_i32_16x16x32_i8 v[196:199], a[122:123], v[138:139], v[196:199]// 0000000039A8: D3D700C4 0F13157A
	buffer_load_dwordx4 a[92:95], v36, s[20:23], 0 offen offset:1024// 0000000039B0: E05C1400 80855C24
	v_mfma_i32_16x16x32_i8 v[196:199], a[124:125], v[140:141], v[196:199]// 0000000039B8: D3D700C4 0F13197C
	s_lshr_b32 s57, s70, 4                                     // 0000000039C0: 8F398446
	s_add_u32 s57, 48, s57                                     // 0000000039C4: 803939B0
	v_mfma_i32_16x16x32_i8 v[196:199], a[126:127], v[142:143], v[196:199]// 0000000039C8: D3D700C4 0F131D7E
	s_cmp_ge_u32 s57, s73                                      // 0000000039D0: BF094939
	s_cselect_b32 s56, 0, s56                                  // 0000000039D4: 85383880
	v_add_u32_e32 v1, s56, v1                                  // 0000000039D8: 68020238
	s_addk_i32 s70, 0x100                                      // 0000000039DC: B7460100
	s_cmp_lt_i32 s70, s71                                      // 0000000039E0: BF044746
	s_cbranch_scc0 label_05FB                                  // 0000000039E4: BF840001
	s_branch label_0216                                        // 0000000039E8: BF82FC1B

00000000000039ec <label_05FB>:
	s_nop 0                                                    // 0000000039EC: BF800000
	s_nop 0                                                    // 0000000039F0: BF800000
	s_branch label_09E3                                        // 0000000039F4: BF8203E5

00000000000039f8 <label_05FE>:
	s_waitcnt vmcnt(8) lgkmcnt(0)                              // 0000000039F8: BF8C0078
	v_mul_u32_u24_dpp v41, v20, v68 row_newbcast:0 row_mask:0xf bank_mask:0xf// 0000000039FC: 105288FA FF015014
	v_mul_u32_u24_dpp v42, v20, v68 row_newbcast:4 row_mask:0xf bank_mask:0xf// 000000003A04: 105488FA FF015414
	v_mul_u32_u24_dpp v43, v20, v68 row_newbcast:8 row_mask:0xf bank_mask:0xf// 000000003A0C: 105688FA FF015814
	v_mul_u32_u24_dpp v44, v20, v68 row_newbcast:12 row_mask:0xf bank_mask:0xf// 000000003A14: 105888FA FF015C14
	v_add_u32_e32 v29, v41, v6                                 // 000000003A1C: 683A0D29
	v_add_u32_e32 v30, v42, v6                                 // 000000003A20: 683C0D2A
	v_add_u32_e32 v31, v43, v6                                 // 000000003A24: 683E0D2B
	v_add_u32_e32 v32, v44, v6                                 // 000000003A28: 68400D2C
	v_mul_u32_u24_dpp v41, v20, v78 quad_perm:[0,0,0,0] row_mask:0xf bank_mask:0xf// 000000003A2C: 10529CFA FF000014
	v_add_u32_e32 v3, v41, v74                                 // 000000003A34: 68069529
	v_mul_u32_u24_dpp v41, v20, v78 quad_perm:[0,0,0,0] row_mask:0xf bank_mask:0xf// 000000003A38: 10529CFA FF000014
	v_add_u32_e32 v71, v41, v75                                // 000000003A40: 688E9729
	v_mfma_i32_16x16x32_i8 v[128:131], a[0:1], v[96:97], 0     // 000000003A44: D3D70080 0A02C100
	buffer_load_dwordx4 a[32:35], v29, s[16:19], 0 offen       // 000000003A4C: E05C1000 8084201D
	v_mfma_i32_16x16x32_i8 v[128:131], a[2:3], v[98:99], v[128:131]// 000000003A54: D3D70080 0E02C502
	v_mfma_i32_16x16x32_i8 v[128:131], a[4:5], v[100:101], v[128:131]// 000000003A5C: D3D70080 0E02C904
	buffer_load_dword v19, v1, s[24:27], 0 offen               // 000000003A64: E0501000 80061301
	v_mfma_i32_16x16x32_i8 v[128:131], a[6:7], v[102:103], v[128:131]// 000000003A6C: D3D70080 0E02CD06
	v_mfma_i32_16x16x32_i8 v[132:135], a[8:9], v[96:97], 0     // 000000003A74: D3D70084 0A02C108
	buffer_load_dwordx4 a[36:39], v29, s[16:19], 0 offen offset:1024// 000000003A7C: E05C1400 8084241D
	v_mfma_i32_16x16x32_i8 v[132:135], a[10:11], v[98:99], v[132:135]// 000000003A84: D3D70084 0E12C50A
	v_mfma_i32_16x16x32_i8 v[132:135], a[12:13], v[100:101], v[132:135]// 000000003A8C: D3D70084 0E12C90C
	v_mfma_i32_16x16x32_i8 v[132:135], a[14:15], v[102:103], v[132:135]// 000000003A94: D3D70084 0E12CD0E
	v_mfma_i32_16x16x32_i8 v[136:139], a[16:17], v[96:97], 0   // 000000003A9C: D3D70088 0A02C110
	buffer_load_dwordx4 a[40:43], v30, s[16:19], 0 offen       // 000000003AA4: E05C1000 8084281E
	v_mfma_i32_16x16x32_i8 v[136:139], a[18:19], v[98:99], v[136:139]// 000000003AAC: D3D70088 0E22C512
	v_mfma_i32_16x16x32_i8 v[136:139], a[20:21], v[100:101], v[136:139]// 000000003AB4: D3D70088 0E22C914
	v_mfma_i32_16x16x32_i8 v[136:139], a[22:23], v[102:103], v[136:139]// 000000003ABC: D3D70088 0E22CD16
	v_mfma_i32_16x16x32_i8 v[140:143], a[24:25], v[96:97], 0   // 000000003AC4: D3D7008C 0A02C118
	buffer_load_dwordx4 a[44:47], v30, s[16:19], 0 offen offset:1024// 000000003ACC: E05C1400 80842C1E
	v_mfma_i32_16x16x32_i8 v[140:143], a[26:27], v[98:99], v[140:143]// 000000003AD4: D3D7008C 0E32C51A
	v_mfma_i32_16x16x32_i8 v[140:143], a[28:29], v[100:101], v[140:143]// 000000003ADC: D3D7008C 0E32C91C
	v_mfma_i32_16x16x32_i8 v[140:143], a[30:31], v[102:103], v[140:143]// 000000003AE4: D3D7008C 0E32CD1E
	buffer_load_dword v53, v3, s[32:35], 0 offen               // 000000003AEC: E0501000 80083503
	v_mov_b32_dpp v41, v52 row_shr:4 row_mask:0xf bank_mask:0xf// 000000003AF4: 7E5202FA FF011434
	v_mov_b32_dpp v42, v52 row_shl:4 row_mask:0xf bank_mask:0xf// 000000003AFC: 7E5402FA FF010434
	v_cndmask_b32_e64 v248, v52, v41, s[44:45]                 // 000000003B04: D10000F8 00B25334
	v_cndmask_b32_e64 v249, v42, v52, s[44:45]                 // 000000003B0C: D10000F9 00B2692A
	v_mov_b32_dpp v41, v72 row_shr:4 row_mask:0xf bank_mask:0xf// 000000003B14: 7E5202FA FF011448
	v_mov_b32_dpp v42, v72 row_shl:4 row_mask:0xf bank_mask:0xf// 000000003B1C: 7E5402FA FF010448
	v_cndmask_b32_e64 v252, v72, v41, s[44:45]                 // 000000003B24: D10000FC 00B25348
	v_cndmask_b32_e64 v253, v42, v72, s[44:45]                 // 000000003B2C: D10000FD 00B2912A
	v_or_b32_dpp v128, v136, v128 row_shr:8 row_mask:0xf bank_mask:0xf bound_ctrl:1// 000000003B34: 290100FA FF091888
	v_or_b32_dpp v129, v137, v129 row_shr:8 row_mask:0xf bank_mask:0xf bound_ctrl:1// 000000003B3C: 290302FA FF091889
	v_or_b32_dpp v130, v138, v130 row_shr:8 row_mask:0xf bank_mask:0xf bound_ctrl:1// 000000003B44: 290504FA FF09188A
	v_or_b32_dpp v131, v139, v131 row_shr:8 row_mask:0xf bank_mask:0xf bound_ctrl:1// 000000003B4C: 290706FA FF09188B
	v_or_b32_dpp v132, v140, v132 row_shr:8 row_mask:0xf bank_mask:0xf bound_ctrl:1// 000000003B54: 290908FA FF09188C
	v_or_b32_dpp v133, v141, v133 row_shr:8 row_mask:0xf bank_mask:0xf bound_ctrl:1// 000000003B5C: 290B0AFA FF09188D
	v_or_b32_dpp v134, v142, v134 row_shr:8 row_mask:0xf bank_mask:0xf bound_ctrl:1// 000000003B64: 290D0CFA FF09188E
	v_or_b32_dpp v135, v143, v135 row_shr:8 row_mask:0xf bank_mask:0xf bound_ctrl:1// 000000003B6C: 290F0EFA FF09188F
	buffer_load_dword v73, v71, s[36:39], 0 offen              // 000000003B74: E0501000 80094947
	v_cvt_f32_i32_e32 v128, v128                               // 000000003B7C: 7F000B80
	v_cvt_f32_i32_e32 v129, v129                               // 000000003B80: 7F020B81
	v_cvt_f32_i32_e32 v130, v130                               // 000000003B84: 7F040B82
	v_cvt_f32_i32_e32 v131, v131                               // 000000003B88: 7F060B83
	v_cvt_f32_i32_e32 v132, v132                               // 000000003B8C: 7F080B84
	v_cvt_f32_i32_e32 v133, v133                               // 000000003B90: 7F0A0B85
	v_cvt_f32_i32_e32 v134, v134                               // 000000003B94: 7F0C0B86
	v_cvt_f32_i32_e32 v135, v135                               // 000000003B98: 7F0E0B87
	v_mul_f32_e32 v128, v54, v128                              // 000000003B9C: 0B010136
	v_mul_f32_e32 v129, v54, v129                              // 000000003BA0: 0B030336
	v_mul_f32_e32 v130, v54, v130                              // 000000003BA4: 0B050536
	v_mul_f32_e32 v131, v54, v131                              // 000000003BA8: 0B070736
	v_mul_f32_e32 v132, v54, v132                              // 000000003BAC: 0B090936
	v_mul_f32_e32 v133, v54, v133                              // 000000003BB0: 0B0B0B36
	v_mul_f32_e32 v134, v54, v134                              // 000000003BB4: 0B0D0D36
	v_mul_f32_e32 v135, v54, v135                              // 000000003BB8: 0B0F0F36
	buffer_load_dwordx4 a[48:51], v31, s[16:19], 0 offen       // 000000003BBC: E05C1000 8084301F
	v_mul_f32_dpp v128, v248, v128 quad_perm:[0,0,0,0] row_mask:0xf bank_mask:0xf// 000000003BC4: 0B0100FA FF0000F8
	v_mul_f32_dpp v129, v248, v129 quad_perm:[1,1,1,1] row_mask:0xf bank_mask:0xf// 000000003BCC: 0B0302FA FF0055F8
	v_mul_f32_dpp v130, v248, v130 quad_perm:[2,2,2,2] row_mask:0xf bank_mask:0xf// 000000003BD4: 0B0504FA FF00AAF8
	v_mul_f32_dpp v131, v248, v131 quad_perm:[3,3,3,3] row_mask:0xf bank_mask:0xf// 000000003BDC: 0B0706FA FF00FFF8
	v_mul_f32_dpp v132, v249, v132 quad_perm:[0,0,0,0] row_mask:0xf bank_mask:0xf// 000000003BE4: 0B0908FA FF0000F9
	v_mul_f32_dpp v133, v249, v133 quad_perm:[1,1,1,1] row_mask:0xf bank_mask:0xf// 000000003BEC: 0B0B0AFA FF0055F9
	v_mul_f32_dpp v134, v249, v134 quad_perm:[2,2,2,2] row_mask:0xf bank_mask:0xf// 000000003BF4: 0B0D0CFA FF00AAF9
	v_mul_f32_dpp v135, v249, v135 quad_perm:[3,3,3,3] row_mask:0xf bank_mask:0xf// 000000003BFC: 0B0F0EFA FF00FFF9
	buffer_load_dwordx4 a[52:55], v31, s[16:19], 0 offen offset:1024// 000000003C04: E05C1400 8084341F
	v_mov_b32_e32 v62, v128                                    // 000000003C0C: 7E7C0380
	v_max3_f32 v62, v128, v129, v62                            // 000000003C10: D1D3003E 04FB0380
	v_max3_f32 v62, v130, v131, v62                            // 000000003C18: D1D3003E 04FB0782
	v_max3_f32 v62, v132, v133, v62                            // 000000003C20: D1D3003E 04FB0B84
	v_max3_f32 v62, v134, v135, v62                            // 000000003C28: D1D3003E 04FB0F86
	ds_write_b32 v11, v62 offset:16896                         // 000000003C30: D81A4200 00003E0B
	buffer_load_dwordx4 a[56:59], v32, s[16:19], 0 offen       // 000000003C38: E05C1000 80843820
	v_mul_u32_u24_dpp v41, v20, v68 row_newbcast:1 row_mask:0xf bank_mask:0xf// 000000003C40: 105288FA FF015114
	v_mul_u32_u24_dpp v42, v20, v68 row_newbcast:5 row_mask:0xf bank_mask:0xf// 000000003C48: 105488FA FF015514
	v_mul_u32_u24_dpp v43, v20, v68 row_newbcast:9 row_mask:0xf bank_mask:0xf// 000000003C50: 105688FA FF015914
	v_mul_u32_u24_dpp v44, v20, v68 row_newbcast:13 row_mask:0xf bank_mask:0xf// 000000003C58: 105888FA FF015D14
	v_add_u32_e32 v37, v41, v7                                 // 000000003C60: 684A0F29
	v_add_u32_e32 v38, v42, v7                                 // 000000003C64: 684C0F2A
	v_add_u32_e32 v39, v43, v7                                 // 000000003C68: 684E0F2B
	v_add_u32_e32 v40, v44, v7                                 // 000000003C6C: 68500F2C
	s_waitcnt lgkmcnt(0)                                       // 000000003C70: BF8CC07F
	s_barrier                                                  // 000000003C74: BF8A0000
	ds_read_b32 v80, v10 offset:16896                          // 000000003C78: D86C4200 5000000A
	ds_read_b32 v81, v10 offset:16960                          // 000000003C80: D86C4240 5100000A
	ds_read_b32 v82, v10 offset:17024                          // 000000003C88: D86C4280 5200000A
	ds_read_b32 v83, v10 offset:17088                          // 000000003C90: D86C42C0 5300000A
	ds_read_b32 v84, v10 offset:17152                          // 000000003C98: D86C4300 5400000A
	ds_read_b32 v85, v10 offset:17216                          // 000000003CA0: D86C4340 5500000A
	ds_read_b32 v86, v10 offset:17280                          // 000000003CA8: D86C4380 5600000A
	ds_read_b32 v87, v10 offset:17344                          // 000000003CB0: D86C43C0 5700000A
	ds_read_b32 v88, v10 offset:17408                          // 000000003CB8: D86C4400 5800000A
	ds_read_b32 v89, v10 offset:17472                          // 000000003CC0: D86C4440 5900000A
	ds_read_b32 v90, v10 offset:17536                          // 000000003CC8: D86C4480 5A00000A
	ds_read_b32 v91, v10 offset:17600                          // 000000003CD0: D86C44C0 5B00000A
	ds_read_b32 v92, v10 offset:17664                          // 000000003CD8: D86C4500 5C00000A
	ds_read_b32 v93, v10 offset:17728                          // 000000003CE0: D86C4540 5D00000A
	ds_read_b32 v94, v10 offset:17792                          // 000000003CE8: D86C4580 5E00000A
	ds_read_b32 v95, v10 offset:17856                          // 000000003CF0: D86C45C0 5F00000A
	buffer_load_dwordx4 a[60:63], v32, s[16:19], 0 offen offset:1024// 000000003CF8: E05C1400 80843C20
	v_mul_f32_e32 v224, v63, v224                              // 000000003D00: 0BC1C13F
	v_mul_f32_e32 v225, v63, v225                              // 000000003D04: 0BC3C33F
	v_mul_f32_e32 v226, v63, v226                              // 000000003D08: 0BC5C53F
	v_mul_f32_e32 v227, v63, v227                              // 000000003D0C: 0BC7C73F
	v_or_b32_dpp v192, v196, v192 row_shr:8 row_mask:0xf bank_mask:0xf bound_ctrl:1// 000000003D10: 298180FA FF0918C4
	v_or_b32_dpp v193, v197, v193 row_shr:8 row_mask:0xf bank_mask:0xf bound_ctrl:1// 000000003D18: 298382FA FF0918C5
	v_or_b32_dpp v194, v198, v194 row_shr:8 row_mask:0xf bank_mask:0xf bound_ctrl:1// 000000003D20: 298584FA FF0918C6
	v_or_b32_dpp v195, v199, v195 row_shr:8 row_mask:0xf bank_mask:0xf bound_ctrl:1// 000000003D28: 298786FA FF0918C7
	s_waitcnt lgkmcnt(0)                                       // 000000003D30: BF8CC07F
	v_max3_f32 v62, v80, v81, v62                              // 000000003D34: D1D3003E 04FAA350
	v_max3_f32 v62, v82, v83, v62                              // 000000003D3C: D1D3003E 04FAA752
	v_max3_f32 v62, v84, v85, v62                              // 000000003D44: D1D3003E 04FAAB54
	v_max3_f32 v62, v86, v87, v62                              // 000000003D4C: D1D3003E 04FAAF56
	v_max3_f32 v62, v88, v89, v62                              // 000000003D54: D1D3003E 04FAB358
	v_max3_f32 v62, v90, v91, v62                              // 000000003D5C: D1D3003E 04FAB75A
	v_max3_f32 v62, v92, v93, v62                              // 000000003D64: D1D3003E 04FABB5C
	v_max3_f32 v62, v94, v95, v62                              // 000000003D6C: D1D3003E 04FABF5E
	buffer_load_dwordx4 a[96:99], v37, s[20:23], 0 offen       // 000000003D74: E05C1000 80856025
	v_cmp_eq_u32_e64 s[40:41], v69, v14                        // 000000003D7C: D0CA0028 00021D45
	s_nop 1                                                    // 000000003D84: BF800001
	v_mov_b32_dpp v41, v62 row_ror:8 row_mask:0xf bank_mask:0xf// 000000003D88: 7E5202FA FF01283E
	v_max_f32_e32 v62, v62, v41                                // 000000003D90: 167C533E
	v_max_f32_e32 v18, v62, v14                                // 000000003D94: 16241D3E
	v_mul_f32_e32 v67, s64, v18                                // 000000003D98: 0A862440
	v_fma_f32 v128, v128, s64, -v67                            // 000000003D9C: D1CB0080 850C8180
	v_fma_f32 v129, v129, s64, -v67                            // 000000003DA4: D1CB0081 850C8181
	v_fma_f32 v130, v130, s64, -v67                            // 000000003DAC: D1CB0082 850C8182
	v_fma_f32 v131, v131, s64, -v67                            // 000000003DB4: D1CB0083 850C8183
	v_fma_f32 v132, v132, s64, -v67                            // 000000003DBC: D1CB0084 850C8184
	v_fma_f32 v133, v133, s64, -v67                            // 000000003DC4: D1CB0085 850C8185
	v_fma_f32 v134, v134, s64, -v67                            // 000000003DCC: D1CB0086 850C8186
	v_fma_f32 v135, v135, s64, -v67                            // 000000003DD4: D1CB0087 850C8187
	buffer_load_dwordx4 a[100:103], v38, s[20:23], 0 offen     // 000000003DDC: E05C1000 80856426
	v_exp_f32_e32 v128, v128                                   // 000000003DE4: 7F004180
	v_exp_f32_e32 v129, v129                                   // 000000003DE8: 7F024181
	v_exp_f32_e32 v130, v130                                   // 000000003DEC: 7F044182
	v_exp_f32_e32 v131, v131                                   // 000000003DF0: 7F064183
	v_exp_f32_e32 v132, v132                                   // 000000003DF4: 7F084184
	v_exp_f32_e32 v133, v133                                   // 000000003DF8: 7F0A4185
	v_exp_f32_e32 v134, v134                                   // 000000003DFC: 7F0C4186
	v_exp_f32_e32 v135, v135                                   // 000000003E00: 7F0E4187
	buffer_load_dwordx4 a[104:107], v39, s[20:23], 0 offen     // 000000003E04: E05C1000 80856827
	v_mul_f32_dpp v240, v252, v128 quad_perm:[0,0,0,0] row_mask:0xf bank_mask:0xf// 000000003E0C: 0BE100FA FF0000FC
	v_mul_f32_dpp v241, v252, v129 quad_perm:[1,1,1,1] row_mask:0xf bank_mask:0xf// 000000003E14: 0BE302FA FF0055FC
	v_mul_f32_dpp v242, v252, v130 quad_perm:[2,2,2,2] row_mask:0xf bank_mask:0xf// 000000003E1C: 0BE504FA FF00AAFC
	v_mul_f32_dpp v243, v252, v131 quad_perm:[3,3,3,3] row_mask:0xf bank_mask:0xf// 000000003E24: 0BE706FA FF00FFFC
	v_mul_f32_dpp v244, v253, v132 quad_perm:[0,0,0,0] row_mask:0xf bank_mask:0xf// 000000003E2C: 0BE908FA FF0000FD
	v_mul_f32_dpp v245, v253, v133 quad_perm:[1,1,1,1] row_mask:0xf bank_mask:0xf// 000000003E34: 0BEB0AFA FF0055FD
	v_mul_f32_dpp v246, v253, v134 quad_perm:[2,2,2,2] row_mask:0xf bank_mask:0xf// 000000003E3C: 0BED0CFA FF00AAFD
	v_mul_f32_dpp v247, v253, v135 quad_perm:[3,3,3,3] row_mask:0xf bank_mask:0xf// 000000003E44: 0BEF0EFA FF00FFFD
	v_mov_b32_e32 v62, 0x358637bd                              // 000000003E4C: 7E7C02FF 358637BD
	v_max3_f32 v62, |v240|, |v241|, v62                        // 000000003E54: D1D3033E 04FBE3F0
	v_max3_f32 v62, |v242|, |v243|, v62                        // 000000003E5C: D1D3033E 04FBE7F2
	v_max3_f32 v62, |v244|, |v245|, v62                        // 000000003E64: D1D3033E 04FBEBF4
	v_max3_f32 v62, |v246|, |v247|, v62                        // 000000003E6C: D1D3033E 04FBEFF6
	buffer_load_dwordx4 a[108:111], v40, s[20:23], 0 offen     // 000000003E74: E05C1000 80856C28
	ds_write_b32 v11, v62 offset:20992                         // 000000003E7C: D81A5200 00003E0B
	v_sub_f32_e32 v63, v14, v18                                // 000000003E84: 047E250E
	v_cndmask_b32_e64 v63, v63, 0, s[40:41]                    // 000000003E88: D100003F 00A1013F
	v_mov_b32_e32 v14, v18                                     // 000000003E90: 7E1C0312
	v_mul_f32_e32 v63, s64, v63                                // 000000003E94: 0A7E7E40
	v_exp_f32_e32 v63, v63                                     // 000000003E98: 7E7E413F
	s_waitcnt lgkmcnt(0)                                       // 000000003E9C: BF8CC07F
	s_barrier                                                  // 000000003EA0: BF8A0000
	ds_read_b32 v80, v10 offset:20992                          // 000000003EA4: D86C5200 5000000A
	ds_read_b32 v81, v10 offset:21056                          // 000000003EAC: D86C5240 5100000A
	ds_read_b32 v82, v10 offset:21120                          // 000000003EB4: D86C5280 5200000A
	ds_read_b32 v83, v10 offset:21184                          // 000000003EBC: D86C52C0 5300000A
	ds_read_b32 v84, v10 offset:21248                          // 000000003EC4: D86C5300 5400000A
	ds_read_b32 v85, v10 offset:21312                          // 000000003ECC: D86C5340 5500000A
	ds_read_b32 v86, v10 offset:21376                          // 000000003ED4: D86C5380 5600000A
	ds_read_b32 v87, v10 offset:21440                          // 000000003EDC: D86C53C0 5700000A
	ds_read_b32 v88, v10 offset:21504                          // 000000003EE4: D86C5400 5800000A
	ds_read_b32 v89, v10 offset:21568                          // 000000003EEC: D86C5440 5900000A
	ds_read_b32 v90, v10 offset:21632                          // 000000003EF4: D86C5480 5A00000A
	ds_read_b32 v91, v10 offset:21696                          // 000000003EFC: D86C54C0 5B00000A
	ds_read_b32 v92, v10 offset:21760                          // 000000003F04: D86C5500 5C00000A
	ds_read_b32 v93, v10 offset:21824                          // 000000003F0C: D86C5540 5D00000A
	ds_read_b32 v94, v10 offset:21888                          // 000000003F14: D86C5580 5E00000A
	ds_read_b32 v95, v10 offset:21952                          // 000000003F1C: D86C55C0 5F00000A
	v_mul_f32_e32 v47, v63, v47                                // 000000003F24: 0A5E5F3F
	v_mov_b32_e32 v51, v128                                    // 000000003F28: 7E660380
	v_add_f32_e32 v51, v129, v51                               // 000000003F2C: 02666781
	v_add_f32_e32 v51, v130, v51                               // 000000003F30: 02666782
	v_add_f32_e32 v51, v131, v51                               // 000000003F34: 02666783
	v_add_f32_e32 v51, v132, v51                               // 000000003F38: 02666784
	v_add_f32_e32 v51, v133, v51                               // 000000003F3C: 02666785
	v_add_f32_e32 v51, v134, v51                               // 000000003F40: 02666786
	v_add_f32_e32 v51, v135, v51                               // 000000003F44: 02666787
	v_add_f32_e32 v47, v51, v47                                // 000000003F48: 025E5F33
	s_waitcnt lgkmcnt(0)                                       // 000000003F4C: BF8CC07F
	v_max3_f32 v62, |v80|, |v81|, v62                          // 000000003F50: D1D3033E 04FAA350
	v_max3_f32 v62, |v82|, |v83|, v62                          // 000000003F58: D1D3033E 04FAA752
	v_max3_f32 v62, |v84|, |v85|, v62                          // 000000003F60: D1D3033E 04FAAB54
	v_max3_f32 v62, |v86|, |v87|, v62                          // 000000003F68: D1D3033E 04FAAF56
	v_max3_f32 v62, |v88|, |v89|, v62                          // 000000003F70: D1D3033E 04FAB358
	v_max3_f32 v62, |v90|, |v91|, v62                          // 000000003F78: D1D3033E 04FAB75A
	v_max3_f32 v62, |v92|, |v93|, v62                          // 000000003F80: D1D3033E 04FABB5C
	v_max3_f32 v62, |v94|, |v95|, v62                          // 000000003F88: D1D3033E 04FABF5E
	s_nop 2                                                    // 000000003F90: BF800002
	v_mov_b32_dpp v41, v62 row_ror:8 row_mask:0xf bank_mask:0xf// 000000003F94: 7E5202FA FF01283E
	v_max_f32_e32 v62, v62, v41                                // 000000003F9C: 167C533E
	v_rcp_f32_e32 v62, v62                                     // 000000003FA0: 7E7C453E
	s_nop 1                                                    // 000000003FA4: BF800001
	v_mul_f32_e32 v62, 0x42fe0000, v62                         // 000000003FA8: 0A7C7CFF 42FE0000
	v_mul_f32_e32 v128, v62, v240                              // 000000003FB0: 0B01E13E
	v_mul_f32_e32 v129, v62, v241                              // 000000003FB4: 0B03E33E
	v_mul_f32_e32 v130, v62, v242                              // 000000003FB8: 0B05E53E
	v_mul_f32_e32 v131, v62, v243                              // 000000003FBC: 0B07E73E
	v_mul_f32_e32 v132, v62, v244                              // 000000003FC0: 0B09E93E
	v_mul_f32_e32 v133, v62, v245                              // 000000003FC4: 0B0BEB3E
	v_mul_f32_e32 v134, v62, v246                              // 000000003FC8: 0B0DED3E
	v_mul_f32_e32 v135, v62, v247                              // 000000003FCC: 0B0FEF3E
	v_cvt_i32_f32_e32 v128, v128                               // 000000003FD0: 7F001180
	v_cvt_i32_f32_e32 v129, v129                               // 000000003FD4: 7F021181
	v_cvt_i32_f32_e32 v130, v130                               // 000000003FD8: 7F041182
	v_cvt_i32_f32_e32 v131, v131                               // 000000003FDC: 7F061183
	v_cvt_i32_f32_e32 v132, v132                               // 000000003FE0: 7F081184
	v_cvt_i32_f32_e32 v133, v133                               // 000000003FE4: 7F0A1185
	v_cvt_i32_f32_e32 v134, v134                               // 000000003FE8: 7F0C1186
	v_cvt_i32_f32_e32 v135, v135                               // 000000003FEC: 7F0E1187
	v_perm_b32 v128, v129, v128, s53                           // 000000003FF0: D1ED0080 00D70181
	v_perm_b32 v128, v130, v128, s54                           // 000000003FF8: D1ED0080 00DB0182
	v_perm_b32 v128, v131, v128, s55                           // 000000004000: D1ED0080 00DF0183
	v_perm_b32 v129, v133, v132, s53                           // 000000004008: D1ED0081 00D70985
	v_perm_b32 v129, v134, v129, s54                           // 000000004010: D1ED0081 00DB0386
	v_perm_b32 v129, v135, v129, s55                           // 000000004018: D1ED0081 00DF0387
	ds_write_b32 v13, v128 offset:25088                        // 000000004020: D81A6200 0000800D
	ds_write_b32 v13, v129 offset:26112                        // 000000004028: D81A6600 0000810D
	v_cvt_f32_i32_e32 v192, v192                               // 000000004030: 7F800BC0
	v_cvt_f32_i32_e32 v193, v193                               // 000000004034: 7F820BC1
	v_cvt_f32_i32_e32 v194, v194                               // 000000004038: 7F840BC2
	v_cvt_f32_i32_e32 v195, v195                               // 00000000403C: 7F860BC3
	v_mul_f32_e32 v192, v58, v192                              // 000000004040: 0B81813A
	v_mul_f32_e32 v193, v58, v193                              // 000000004044: 0B83833A
	v_mul_f32_e32 v194, v58, v194                              // 000000004048: 0B85853A
	v_mul_f32_e32 v195, v58, v195                              // 00000000404C: 0B87873A
	v_rcp_f32_e32 v58, v62                                     // 000000004050: 7E74453E
	s_waitcnt lgkmcnt(0)                                       // 000000004054: BF8CC07F
	s_barrier                                                  // 000000004058: BF8A0000
	ds_read_b64 v[128:129], v12 offset:25088                   // 00000000405C: D8EC6200 8000000C
	ds_read_b64 v[130:131], v12 offset:25216                   // 000000004064: D8EC6280 8200000C
	ds_read_b64 v[132:133], v12 offset:26112                   // 00000000406C: D8EC6600 8400000C
	ds_read_b64 v[134:135], v12 offset:26240                   // 000000004074: D8EC6680 8600000C
	v_add_f32_e32 v224, v224, v192                             // 00000000407C: 03C181E0
	v_add_f32_e32 v225, v225, v193                             // 000000004080: 03C383E1
	v_add_f32_e32 v226, v226, v194                             // 000000004084: 03C585E2
	v_add_f32_e32 v227, v227, v195                             // 000000004088: 03C787E3
	s_waitcnt lgkmcnt(3)                                       // 00000000408C: BF8CC37F
	v_mov_b32_dpp v136, v128 row_shl:8 row_mask:0xf bank_mask:0xf bound_ctrl:1// 000000004090: 7F1002FA FF090880
	v_and_b32_e32 v128, v128, v9                               // 000000004098: 27001380
	v_mov_b32_dpp v137, v129 row_shl:8 row_mask:0xf bank_mask:0xf bound_ctrl:1// 00000000409C: 7F1202FA FF090881
	v_and_b32_e32 v129, v129, v9                               // 0000000040A4: 27021381
	s_waitcnt lgkmcnt(2)                                       // 0000000040A8: BF8CC27F
	v_mov_b32_dpp v138, v130 row_shl:8 row_mask:0xf bank_mask:0xf bound_ctrl:1// 0000000040AC: 7F1402FA FF090882
	v_and_b32_e32 v130, v130, v9                               // 0000000040B4: 27041382
	v_mov_b32_dpp v139, v131 row_shl:8 row_mask:0xf bank_mask:0xf bound_ctrl:1// 0000000040B8: 7F1602FA FF090883
	v_and_b32_e32 v131, v131, v9                               // 0000000040C0: 27061383
	s_waitcnt lgkmcnt(1)                                       // 0000000040C4: BF8CC17F
	v_mov_b32_dpp v140, v132 row_shl:8 row_mask:0xf bank_mask:0xf bound_ctrl:1// 0000000040C8: 7F1802FA FF090884
	v_and_b32_e32 v132, v132, v9                               // 0000000040D0: 27081384
	v_mov_b32_dpp v141, v133 row_shl:8 row_mask:0xf bank_mask:0xf bound_ctrl:1// 0000000040D4: 7F1A02FA FF090885
	v_and_b32_e32 v133, v133, v9                               // 0000000040DC: 270A1385
	s_waitcnt lgkmcnt(0)                                       // 0000000040E0: BF8CC07F
	v_mov_b32_dpp v142, v134 row_shl:8 row_mask:0xf bank_mask:0xf bound_ctrl:1// 0000000040E4: 7F1C02FA FF090886
	v_and_b32_e32 v134, v134, v9                               // 0000000040EC: 270C1386
	v_mov_b32_dpp v143, v135 row_shl:8 row_mask:0xf bank_mask:0xf bound_ctrl:1// 0000000040F0: 7F1E02FA FF090887
	v_and_b32_e32 v135, v135, v9                               // 0000000040F8: 270E1387
	s_waitcnt vmcnt(15)                                        // 0000000040FC: BF8C0F7F
	v_mfma_i32_16x16x32_i8 v[192:195], a[64:65], v[128:129], 0 // 000000004100: D3D700C0 0A030140
	buffer_load_dwordx4 a[112:115], v37, s[20:23], 0 offen offset:1024// 000000004108: E05C1400 80857025
	v_mfma_i32_16x16x32_i8 v[192:195], a[66:67], v[130:131], v[192:195]// 000000004110: D3D700C0 0F030542
	v_mfma_i32_16x16x32_i8 v[192:195], a[68:69], v[132:133], v[192:195]// 000000004118: D3D700C0 0F030944
	v_mfma_i32_16x16x32_i8 v[192:195], a[70:71], v[134:135], v[192:195]// 000000004120: D3D700C0 0F030D46
	v_mfma_i32_16x16x32_i8 v[192:195], a[72:73], v[136:137], v[192:195]// 000000004128: D3D700C0 0F031148
	buffer_load_dwordx4 a[116:119], v38, s[20:23], 0 offen offset:1024// 000000004130: E05C1400 80857426
	v_mfma_i32_16x16x32_i8 v[192:195], a[74:75], v[138:139], v[192:195]// 000000004138: D3D700C0 0F03154A
	v_mfma_i32_16x16x32_i8 v[192:195], a[76:77], v[140:141], v[192:195]// 000000004140: D3D700C0 0F03194C
	v_mfma_i32_16x16x32_i8 v[192:195], a[78:79], v[142:143], v[192:195]// 000000004148: D3D700C0 0F031D4E
	v_mfma_i32_16x16x32_i8 v[196:199], a[80:81], v[128:129], 0 // 000000004150: D3D700C4 0A030150
	buffer_load_dwordx4 a[120:123], v39, s[20:23], 0 offen offset:1024// 000000004158: E05C1400 80857827
	v_mfma_i32_16x16x32_i8 v[196:199], a[82:83], v[130:131], v[196:199]// 000000004160: D3D700C4 0F130552
	v_mfma_i32_16x16x32_i8 v[196:199], a[84:85], v[132:133], v[196:199]// 000000004168: D3D700C4 0F130954
	v_mfma_i32_16x16x32_i8 v[196:199], a[86:87], v[134:135], v[196:199]// 000000004170: D3D700C4 0F130D56
	v_mfma_i32_16x16x32_i8 v[196:199], a[88:89], v[136:137], v[196:199]// 000000004178: D3D700C4 0F131158
	buffer_load_dwordx4 a[124:127], v40, s[20:23], 0 offen offset:1024// 000000004180: E05C1400 80857C28
	v_mfma_i32_16x16x32_i8 v[196:199], a[90:91], v[138:139], v[196:199]// 000000004188: D3D700C4 0F13155A
	v_mfma_i32_16x16x32_i8 v[196:199], a[92:93], v[140:141], v[196:199]// 000000004190: D3D700C4 0F13195C
	s_lshr_b32 s57, s70, 4                                     // 000000004198: 8F398446
	s_add_u32 s57, 48, s57                                     // 00000000419C: 803939B0
	v_mfma_i32_16x16x32_i8 v[196:199], a[94:95], v[142:143], v[196:199]// 0000000041A0: D3D700C4 0F131D5E
	s_cmp_ge_u32 s57, s73                                      // 0000000041A8: BF094939
	s_cselect_b32 s56, 0, s56                                  // 0000000041AC: 85383880
	v_add_u32_e32 v1, s56, v1                                  // 0000000041B0: 68020238
	s_addk_i32 s70, 0x100                                      // 0000000041B4: B7460100
	s_cmp_lt_i32 s70, s71                                      // 0000000041B8: BF044746
	s_cbranch_scc0 label_05FB                                  // 0000000041BC: BF84FE0B
	s_waitcnt vmcnt(8) lgkmcnt(0)                              // 0000000041C0: BF8C0078
	v_mul_u32_u24_dpp v41, v19, v68 row_newbcast:0 row_mask:0xf bank_mask:0xf// 0000000041C4: 105288FA FF015013
	v_mul_u32_u24_dpp v42, v19, v68 row_newbcast:4 row_mask:0xf bank_mask:0xf// 0000000041CC: 105488FA FF015413
	v_mul_u32_u24_dpp v43, v19, v68 row_newbcast:8 row_mask:0xf bank_mask:0xf// 0000000041D4: 105688FA FF015813
	v_mul_u32_u24_dpp v44, v19, v68 row_newbcast:12 row_mask:0xf bank_mask:0xf// 0000000041DC: 105888FA FF015C13
	v_add_u32_e32 v25, v41, v6                                 // 0000000041E4: 68320D29
	v_add_u32_e32 v26, v42, v6                                 // 0000000041E8: 68340D2A
	v_add_u32_e32 v27, v43, v6                                 // 0000000041EC: 68360D2B
	v_add_u32_e32 v28, v44, v6                                 // 0000000041F0: 68380D2C
	v_mul_u32_u24_dpp v41, v19, v78 quad_perm:[0,0,0,0] row_mask:0xf bank_mask:0xf// 0000000041F4: 10529CFA FF000013
	v_add_u32_e32 v2, v41, v74                                 // 0000000041FC: 68049529
	v_mul_u32_u24_dpp v41, v19, v78 quad_perm:[0,0,0,0] row_mask:0xf bank_mask:0xf// 000000004200: 10529CFA FF000013
	v_add_u32_e32 v70, v41, v75                                // 000000004208: 688C9729
	v_mfma_i32_16x16x32_i8 v[128:131], a[32:33], v[96:97], 0   // 00000000420C: D3D70080 0A02C120
	buffer_load_dwordx4 a[0:3], v25, s[16:19], 0 offen         // 000000004214: E05C1000 80840019
	v_mfma_i32_16x16x32_i8 v[128:131], a[34:35], v[98:99], v[128:131]// 00000000421C: D3D70080 0E02C522
	v_mfma_i32_16x16x32_i8 v[128:131], a[36:37], v[100:101], v[128:131]// 000000004224: D3D70080 0E02C924
	buffer_load_dword v20, v1, s[24:27], 0 offen               // 00000000422C: E0501000 80061401
	v_mfma_i32_16x16x32_i8 v[128:131], a[38:39], v[102:103], v[128:131]// 000000004234: D3D70080 0E02CD26
	v_mfma_i32_16x16x32_i8 v[132:135], a[40:41], v[96:97], 0   // 00000000423C: D3D70084 0A02C128
	buffer_load_dwordx4 a[4:7], v25, s[16:19], 0 offen offset:1024// 000000004244: E05C1400 80840419
	v_mfma_i32_16x16x32_i8 v[132:135], a[42:43], v[98:99], v[132:135]// 00000000424C: D3D70084 0E12C52A
	v_mfma_i32_16x16x32_i8 v[132:135], a[44:45], v[100:101], v[132:135]// 000000004254: D3D70084 0E12C92C
	v_mfma_i32_16x16x32_i8 v[132:135], a[46:47], v[102:103], v[132:135]// 00000000425C: D3D70084 0E12CD2E
	v_mfma_i32_16x16x32_i8 v[136:139], a[48:49], v[96:97], 0   // 000000004264: D3D70088 0A02C130
	buffer_load_dwordx4 a[8:11], v26, s[16:19], 0 offen        // 00000000426C: E05C1000 8084081A
	v_mfma_i32_16x16x32_i8 v[136:139], a[50:51], v[98:99], v[136:139]// 000000004274: D3D70088 0E22C532
	v_mfma_i32_16x16x32_i8 v[136:139], a[52:53], v[100:101], v[136:139]// 00000000427C: D3D70088 0E22C934
	v_mfma_i32_16x16x32_i8 v[136:139], a[54:55], v[102:103], v[136:139]// 000000004284: D3D70088 0E22CD36
	v_mfma_i32_16x16x32_i8 v[140:143], a[56:57], v[96:97], 0   // 00000000428C: D3D7008C 0A02C138
	buffer_load_dwordx4 a[12:15], v26, s[16:19], 0 offen offset:1024// 000000004294: E05C1400 80840C1A
	v_mfma_i32_16x16x32_i8 v[140:143], a[58:59], v[98:99], v[140:143]// 00000000429C: D3D7008C 0E32C53A
	v_mfma_i32_16x16x32_i8 v[140:143], a[60:61], v[100:101], v[140:143]// 0000000042A4: D3D7008C 0E32C93C
	v_mfma_i32_16x16x32_i8 v[140:143], a[62:63], v[102:103], v[140:143]// 0000000042AC: D3D7008C 0E32CD3E
	buffer_load_dword v52, v2, s[32:35], 0 offen               // 0000000042B4: E0501000 80083402
	v_mov_b32_dpp v41, v53 row_shr:4 row_mask:0xf bank_mask:0xf// 0000000042BC: 7E5202FA FF011435
	v_mov_b32_dpp v42, v53 row_shl:4 row_mask:0xf bank_mask:0xf// 0000000042C4: 7E5402FA FF010435
	v_cndmask_b32_e64 v248, v53, v41, s[44:45]                 // 0000000042CC: D10000F8 00B25335
	v_cndmask_b32_e64 v249, v42, v53, s[44:45]                 // 0000000042D4: D10000F9 00B26B2A
	v_mov_b32_dpp v41, v73 row_shr:4 row_mask:0xf bank_mask:0xf// 0000000042DC: 7E5202FA FF011449
	v_mov_b32_dpp v42, v73 row_shl:4 row_mask:0xf bank_mask:0xf// 0000000042E4: 7E5402FA FF010449
	v_cndmask_b32_e64 v252, v73, v41, s[44:45]                 // 0000000042EC: D10000FC 00B25349
	v_cndmask_b32_e64 v253, v42, v73, s[44:45]                 // 0000000042F4: D10000FD 00B2932A
	v_or_b32_dpp v128, v136, v128 row_shr:8 row_mask:0xf bank_mask:0xf bound_ctrl:1// 0000000042FC: 290100FA FF091888
	v_or_b32_dpp v129, v137, v129 row_shr:8 row_mask:0xf bank_mask:0xf bound_ctrl:1// 000000004304: 290302FA FF091889
	v_or_b32_dpp v130, v138, v130 row_shr:8 row_mask:0xf bank_mask:0xf bound_ctrl:1// 00000000430C: 290504FA FF09188A
	v_or_b32_dpp v131, v139, v131 row_shr:8 row_mask:0xf bank_mask:0xf bound_ctrl:1// 000000004314: 290706FA FF09188B
	v_or_b32_dpp v132, v140, v132 row_shr:8 row_mask:0xf bank_mask:0xf bound_ctrl:1// 00000000431C: 290908FA FF09188C
	v_or_b32_dpp v133, v141, v133 row_shr:8 row_mask:0xf bank_mask:0xf bound_ctrl:1// 000000004324: 290B0AFA FF09188D
	v_or_b32_dpp v134, v142, v134 row_shr:8 row_mask:0xf bank_mask:0xf bound_ctrl:1// 00000000432C: 290D0CFA FF09188E
	v_or_b32_dpp v135, v143, v135 row_shr:8 row_mask:0xf bank_mask:0xf bound_ctrl:1// 000000004334: 290F0EFA FF09188F
	buffer_load_dword v72, v70, s[36:39], 0 offen              // 00000000433C: E0501000 80094846
	v_cvt_f32_i32_e32 v128, v128                               // 000000004344: 7F000B80
	v_cvt_f32_i32_e32 v129, v129                               // 000000004348: 7F020B81
	v_cvt_f32_i32_e32 v130, v130                               // 00000000434C: 7F040B82
	v_cvt_f32_i32_e32 v131, v131                               // 000000004350: 7F060B83
	v_cvt_f32_i32_e32 v132, v132                               // 000000004354: 7F080B84
	v_cvt_f32_i32_e32 v133, v133                               // 000000004358: 7F0A0B85
	v_cvt_f32_i32_e32 v134, v134                               // 00000000435C: 7F0C0B86
	v_cvt_f32_i32_e32 v135, v135                               // 000000004360: 7F0E0B87
	v_mul_f32_e32 v128, v54, v128                              // 000000004364: 0B010136
	v_mul_f32_e32 v129, v54, v129                              // 000000004368: 0B030336
	v_mul_f32_e32 v130, v54, v130                              // 00000000436C: 0B050536
	v_mul_f32_e32 v131, v54, v131                              // 000000004370: 0B070736
	v_mul_f32_e32 v132, v54, v132                              // 000000004374: 0B090936
	v_mul_f32_e32 v133, v54, v133                              // 000000004378: 0B0B0B36
	v_mul_f32_e32 v134, v54, v134                              // 00000000437C: 0B0D0D36
	v_mul_f32_e32 v135, v54, v135                              // 000000004380: 0B0F0F36
	buffer_load_dwordx4 a[16:19], v27, s[16:19], 0 offen       // 000000004384: E05C1000 8084101B
	v_mul_f32_dpp v128, v248, v128 quad_perm:[0,0,0,0] row_mask:0xf bank_mask:0xf// 00000000438C: 0B0100FA FF0000F8
	v_mul_f32_dpp v129, v248, v129 quad_perm:[1,1,1,1] row_mask:0xf bank_mask:0xf// 000000004394: 0B0302FA FF0055F8
	v_mul_f32_dpp v130, v248, v130 quad_perm:[2,2,2,2] row_mask:0xf bank_mask:0xf// 00000000439C: 0B0504FA FF00AAF8
	v_mul_f32_dpp v131, v248, v131 quad_perm:[3,3,3,3] row_mask:0xf bank_mask:0xf// 0000000043A4: 0B0706FA FF00FFF8
	v_mul_f32_dpp v132, v249, v132 quad_perm:[0,0,0,0] row_mask:0xf bank_mask:0xf// 0000000043AC: 0B0908FA FF0000F9
	v_mul_f32_dpp v133, v249, v133 quad_perm:[1,1,1,1] row_mask:0xf bank_mask:0xf// 0000000043B4: 0B0B0AFA FF0055F9
	v_mul_f32_dpp v134, v249, v134 quad_perm:[2,2,2,2] row_mask:0xf bank_mask:0xf// 0000000043BC: 0B0D0CFA FF00AAF9
	v_mul_f32_dpp v135, v249, v135 quad_perm:[3,3,3,3] row_mask:0xf bank_mask:0xf// 0000000043C4: 0B0F0EFA FF00FFF9
	buffer_load_dwordx4 a[20:23], v27, s[16:19], 0 offen offset:1024// 0000000043CC: E05C1400 8084141B
	v_mov_b32_e32 v62, v128                                    // 0000000043D4: 7E7C0380
	v_max3_f32 v62, v128, v129, v62                            // 0000000043D8: D1D3003E 04FB0380
	v_max3_f32 v62, v130, v131, v62                            // 0000000043E0: D1D3003E 04FB0782
	v_max3_f32 v62, v132, v133, v62                            // 0000000043E8: D1D3003E 04FB0B84
	v_max3_f32 v62, v134, v135, v62                            // 0000000043F0: D1D3003E 04FB0F86
	ds_write_b32 v11, v62 offset:16896                         // 0000000043F8: D81A4200 00003E0B
	buffer_load_dwordx4 a[24:27], v28, s[16:19], 0 offen       // 000000004400: E05C1000 8084181C
	v_mul_u32_u24_dpp v41, v19, v68 row_newbcast:1 row_mask:0xf bank_mask:0xf// 000000004408: 105288FA FF015113
	v_mul_u32_u24_dpp v42, v19, v68 row_newbcast:5 row_mask:0xf bank_mask:0xf// 000000004410: 105488FA FF015513
	v_mul_u32_u24_dpp v43, v19, v68 row_newbcast:9 row_mask:0xf bank_mask:0xf// 000000004418: 105688FA FF015913
	v_mul_u32_u24_dpp v44, v19, v68 row_newbcast:13 row_mask:0xf bank_mask:0xf// 000000004420: 105888FA FF015D13
	v_add_u32_e32 v33, v41, v7                                 // 000000004428: 68420F29
	v_add_u32_e32 v34, v42, v7                                 // 00000000442C: 68440F2A
	v_add_u32_e32 v35, v43, v7                                 // 000000004430: 68460F2B
	v_add_u32_e32 v36, v44, v7                                 // 000000004434: 68480F2C
	s_waitcnt lgkmcnt(0)                                       // 000000004438: BF8CC07F
	s_barrier                                                  // 00000000443C: BF8A0000
	ds_read_b32 v80, v10 offset:16896                          // 000000004440: D86C4200 5000000A
	ds_read_b32 v81, v10 offset:16960                          // 000000004448: D86C4240 5100000A
	ds_read_b32 v82, v10 offset:17024                          // 000000004450: D86C4280 5200000A
	ds_read_b32 v83, v10 offset:17088                          // 000000004458: D86C42C0 5300000A
	ds_read_b32 v84, v10 offset:17152                          // 000000004460: D86C4300 5400000A
	ds_read_b32 v85, v10 offset:17216                          // 000000004468: D86C4340 5500000A
	ds_read_b32 v86, v10 offset:17280                          // 000000004470: D86C4380 5600000A
	ds_read_b32 v87, v10 offset:17344                          // 000000004478: D86C43C0 5700000A
	ds_read_b32 v88, v10 offset:17408                          // 000000004480: D86C4400 5800000A
	ds_read_b32 v89, v10 offset:17472                          // 000000004488: D86C4440 5900000A
	ds_read_b32 v90, v10 offset:17536                          // 000000004490: D86C4480 5A00000A
	ds_read_b32 v91, v10 offset:17600                          // 000000004498: D86C44C0 5B00000A
	ds_read_b32 v92, v10 offset:17664                          // 0000000044A0: D86C4500 5C00000A
	ds_read_b32 v93, v10 offset:17728                          // 0000000044A8: D86C4540 5D00000A
	ds_read_b32 v94, v10 offset:17792                          // 0000000044B0: D86C4580 5E00000A
	ds_read_b32 v95, v10 offset:17856                          // 0000000044B8: D86C45C0 5F00000A
	buffer_load_dwordx4 a[28:31], v28, s[16:19], 0 offen offset:1024// 0000000044C0: E05C1400 80841C1C
	v_mul_f32_e32 v224, v63, v224                              // 0000000044C8: 0BC1C13F
	v_mul_f32_e32 v225, v63, v225                              // 0000000044CC: 0BC3C33F
	v_mul_f32_e32 v226, v63, v226                              // 0000000044D0: 0BC5C53F
	v_mul_f32_e32 v227, v63, v227                              // 0000000044D4: 0BC7C73F
	v_or_b32_dpp v192, v196, v192 row_shr:8 row_mask:0xf bank_mask:0xf bound_ctrl:1// 0000000044D8: 298180FA FF0918C4
	v_or_b32_dpp v193, v197, v193 row_shr:8 row_mask:0xf bank_mask:0xf bound_ctrl:1// 0000000044E0: 298382FA FF0918C5
	v_or_b32_dpp v194, v198, v194 row_shr:8 row_mask:0xf bank_mask:0xf bound_ctrl:1// 0000000044E8: 298584FA FF0918C6
	v_or_b32_dpp v195, v199, v195 row_shr:8 row_mask:0xf bank_mask:0xf bound_ctrl:1// 0000000044F0: 298786FA FF0918C7
	s_waitcnt lgkmcnt(0)                                       // 0000000044F8: BF8CC07F
	v_max3_f32 v62, v80, v81, v62                              // 0000000044FC: D1D3003E 04FAA350
	v_max3_f32 v62, v82, v83, v62                              // 000000004504: D1D3003E 04FAA752
	v_max3_f32 v62, v84, v85, v62                              // 00000000450C: D1D3003E 04FAAB54
	v_max3_f32 v62, v86, v87, v62                              // 000000004514: D1D3003E 04FAAF56
	v_max3_f32 v62, v88, v89, v62                              // 00000000451C: D1D3003E 04FAB358
	v_max3_f32 v62, v90, v91, v62                              // 000000004524: D1D3003E 04FAB75A
	v_max3_f32 v62, v92, v93, v62                              // 00000000452C: D1D3003E 04FABB5C
	v_max3_f32 v62, v94, v95, v62                              // 000000004534: D1D3003E 04FABF5E
	buffer_load_dwordx4 a[64:67], v33, s[20:23], 0 offen       // 00000000453C: E05C1000 80854021
	v_cmp_eq_u32_e64 s[40:41], v69, v14                        // 000000004544: D0CA0028 00021D45
	s_nop 1                                                    // 00000000454C: BF800001
	v_mov_b32_dpp v41, v62 row_ror:8 row_mask:0xf bank_mask:0xf// 000000004550: 7E5202FA FF01283E
	v_max_f32_e32 v62, v62, v41                                // 000000004558: 167C533E
	v_max_f32_e32 v18, v62, v14                                // 00000000455C: 16241D3E
	v_mul_f32_e32 v67, s64, v18                                // 000000004560: 0A862440
	v_fma_f32 v128, v128, s64, -v67                            // 000000004564: D1CB0080 850C8180
	v_fma_f32 v129, v129, s64, -v67                            // 00000000456C: D1CB0081 850C8181
	v_fma_f32 v130, v130, s64, -v67                            // 000000004574: D1CB0082 850C8182
	v_fma_f32 v131, v131, s64, -v67                            // 00000000457C: D1CB0083 850C8183
	v_fma_f32 v132, v132, s64, -v67                            // 000000004584: D1CB0084 850C8184
	v_fma_f32 v133, v133, s64, -v67                            // 00000000458C: D1CB0085 850C8185
	v_fma_f32 v134, v134, s64, -v67                            // 000000004594: D1CB0086 850C8186
	v_fma_f32 v135, v135, s64, -v67                            // 00000000459C: D1CB0087 850C8187
	buffer_load_dwordx4 a[68:71], v34, s[20:23], 0 offen       // 0000000045A4: E05C1000 80854422
	v_exp_f32_e32 v128, v128                                   // 0000000045AC: 7F004180
	v_exp_f32_e32 v129, v129                                   // 0000000045B0: 7F024181
	v_exp_f32_e32 v130, v130                                   // 0000000045B4: 7F044182
	v_exp_f32_e32 v131, v131                                   // 0000000045B8: 7F064183
	v_exp_f32_e32 v132, v132                                   // 0000000045BC: 7F084184
	v_exp_f32_e32 v133, v133                                   // 0000000045C0: 7F0A4185
	v_exp_f32_e32 v134, v134                                   // 0000000045C4: 7F0C4186
	v_exp_f32_e32 v135, v135                                   // 0000000045C8: 7F0E4187
	buffer_load_dwordx4 a[72:75], v35, s[20:23], 0 offen       // 0000000045CC: E05C1000 80854823
	v_mul_f32_dpp v240, v252, v128 quad_perm:[0,0,0,0] row_mask:0xf bank_mask:0xf// 0000000045D4: 0BE100FA FF0000FC
	v_mul_f32_dpp v241, v252, v129 quad_perm:[1,1,1,1] row_mask:0xf bank_mask:0xf// 0000000045DC: 0BE302FA FF0055FC
	v_mul_f32_dpp v242, v252, v130 quad_perm:[2,2,2,2] row_mask:0xf bank_mask:0xf// 0000000045E4: 0BE504FA FF00AAFC
	v_mul_f32_dpp v243, v252, v131 quad_perm:[3,3,3,3] row_mask:0xf bank_mask:0xf// 0000000045EC: 0BE706FA FF00FFFC
	v_mul_f32_dpp v244, v253, v132 quad_perm:[0,0,0,0] row_mask:0xf bank_mask:0xf// 0000000045F4: 0BE908FA FF0000FD
	v_mul_f32_dpp v245, v253, v133 quad_perm:[1,1,1,1] row_mask:0xf bank_mask:0xf// 0000000045FC: 0BEB0AFA FF0055FD
	v_mul_f32_dpp v246, v253, v134 quad_perm:[2,2,2,2] row_mask:0xf bank_mask:0xf// 000000004604: 0BED0CFA FF00AAFD
	v_mul_f32_dpp v247, v253, v135 quad_perm:[3,3,3,3] row_mask:0xf bank_mask:0xf// 00000000460C: 0BEF0EFA FF00FFFD
	v_mov_b32_e32 v62, 0x358637bd                              // 000000004614: 7E7C02FF 358637BD
	v_max3_f32 v62, |v240|, |v241|, v62                        // 00000000461C: D1D3033E 04FBE3F0
	v_max3_f32 v62, |v242|, |v243|, v62                        // 000000004624: D1D3033E 04FBE7F2
	v_max3_f32 v62, |v244|, |v245|, v62                        // 00000000462C: D1D3033E 04FBEBF4
	v_max3_f32 v62, |v246|, |v247|, v62                        // 000000004634: D1D3033E 04FBEFF6
	buffer_load_dwordx4 a[76:79], v36, s[20:23], 0 offen       // 00000000463C: E05C1000 80854C24
	ds_write_b32 v11, v62 offset:20992                         // 000000004644: D81A5200 00003E0B
	v_sub_f32_e32 v63, v14, v18                                // 00000000464C: 047E250E
	v_cndmask_b32_e64 v63, v63, 0, s[40:41]                    // 000000004650: D100003F 00A1013F
	v_mov_b32_e32 v14, v18                                     // 000000004658: 7E1C0312
	v_mul_f32_e32 v63, s64, v63                                // 00000000465C: 0A7E7E40
	v_exp_f32_e32 v63, v63                                     // 000000004660: 7E7E413F
	s_waitcnt lgkmcnt(0)                                       // 000000004664: BF8CC07F
	s_barrier                                                  // 000000004668: BF8A0000
	ds_read_b32 v80, v10 offset:20992                          // 00000000466C: D86C5200 5000000A
	ds_read_b32 v81, v10 offset:21056                          // 000000004674: D86C5240 5100000A
	ds_read_b32 v82, v10 offset:21120                          // 00000000467C: D86C5280 5200000A
	ds_read_b32 v83, v10 offset:21184                          // 000000004684: D86C52C0 5300000A
	ds_read_b32 v84, v10 offset:21248                          // 00000000468C: D86C5300 5400000A
	ds_read_b32 v85, v10 offset:21312                          // 000000004694: D86C5340 5500000A
	ds_read_b32 v86, v10 offset:21376                          // 00000000469C: D86C5380 5600000A
	ds_read_b32 v87, v10 offset:21440                          // 0000000046A4: D86C53C0 5700000A
	ds_read_b32 v88, v10 offset:21504                          // 0000000046AC: D86C5400 5800000A
	ds_read_b32 v89, v10 offset:21568                          // 0000000046B4: D86C5440 5900000A
	ds_read_b32 v90, v10 offset:21632                          // 0000000046BC: D86C5480 5A00000A
	ds_read_b32 v91, v10 offset:21696                          // 0000000046C4: D86C54C0 5B00000A
	ds_read_b32 v92, v10 offset:21760                          // 0000000046CC: D86C5500 5C00000A
	ds_read_b32 v93, v10 offset:21824                          // 0000000046D4: D86C5540 5D00000A
	ds_read_b32 v94, v10 offset:21888                          // 0000000046DC: D86C5580 5E00000A
	ds_read_b32 v95, v10 offset:21952                          // 0000000046E4: D86C55C0 5F00000A
	v_mul_f32_e32 v47, v63, v47                                // 0000000046EC: 0A5E5F3F
	v_mov_b32_e32 v51, v128                                    // 0000000046F0: 7E660380
	v_add_f32_e32 v51, v129, v51                               // 0000000046F4: 02666781
	v_add_f32_e32 v51, v130, v51                               // 0000000046F8: 02666782
	v_add_f32_e32 v51, v131, v51                               // 0000000046FC: 02666783
	v_add_f32_e32 v51, v132, v51                               // 000000004700: 02666784
	v_add_f32_e32 v51, v133, v51                               // 000000004704: 02666785
	;; [unrolled: 1-line block ×3, first 2 shown]
	v_add_f32_e32 v51, v135, v51                               // 00000000470C: 02666787
	v_add_f32_e32 v47, v51, v47                                // 000000004710: 025E5F33
	s_waitcnt lgkmcnt(0)                                       // 000000004714: BF8CC07F
	v_max3_f32 v62, |v80|, |v81|, v62                          // 000000004718: D1D3033E 04FAA350
	v_max3_f32 v62, |v82|, |v83|, v62                          // 000000004720: D1D3033E 04FAA752
	v_max3_f32 v62, |v84|, |v85|, v62                          // 000000004728: D1D3033E 04FAAB54
	v_max3_f32 v62, |v86|, |v87|, v62                          // 000000004730: D1D3033E 04FAAF56
	v_max3_f32 v62, |v88|, |v89|, v62                          // 000000004738: D1D3033E 04FAB358
	v_max3_f32 v62, |v90|, |v91|, v62                          // 000000004740: D1D3033E 04FAB75A
	v_max3_f32 v62, |v92|, |v93|, v62                          // 000000004748: D1D3033E 04FABB5C
	v_max3_f32 v62, |v94|, |v95|, v62                          // 000000004750: D1D3033E 04FABF5E
	s_nop 2                                                    // 000000004758: BF800002
	v_mov_b32_dpp v41, v62 row_ror:8 row_mask:0xf bank_mask:0xf// 00000000475C: 7E5202FA FF01283E
	v_max_f32_e32 v62, v62, v41                                // 000000004764: 167C533E
	v_rcp_f32_e32 v62, v62                                     // 000000004768: 7E7C453E
	s_nop 1                                                    // 00000000476C: BF800001
	v_mul_f32_e32 v62, 0x42fe0000, v62                         // 000000004770: 0A7C7CFF 42FE0000
	v_mul_f32_e32 v128, v62, v240                              // 000000004778: 0B01E13E
	v_mul_f32_e32 v129, v62, v241                              // 00000000477C: 0B03E33E
	v_mul_f32_e32 v130, v62, v242                              // 000000004780: 0B05E53E
	v_mul_f32_e32 v131, v62, v243                              // 000000004784: 0B07E73E
	v_mul_f32_e32 v132, v62, v244                              // 000000004788: 0B09E93E
	v_mul_f32_e32 v133, v62, v245                              // 00000000478C: 0B0BEB3E
	v_mul_f32_e32 v134, v62, v246                              // 000000004790: 0B0DED3E
	v_mul_f32_e32 v135, v62, v247                              // 000000004794: 0B0FEF3E
	v_cvt_i32_f32_e32 v128, v128                               // 000000004798: 7F001180
	v_cvt_i32_f32_e32 v129, v129                               // 00000000479C: 7F021181
	v_cvt_i32_f32_e32 v130, v130                               // 0000000047A0: 7F041182
	v_cvt_i32_f32_e32 v131, v131                               // 0000000047A4: 7F061183
	v_cvt_i32_f32_e32 v132, v132                               // 0000000047A8: 7F081184
	v_cvt_i32_f32_e32 v133, v133                               // 0000000047AC: 7F0A1185
	v_cvt_i32_f32_e32 v134, v134                               // 0000000047B0: 7F0C1186
	v_cvt_i32_f32_e32 v135, v135                               // 0000000047B4: 7F0E1187
	v_perm_b32 v128, v129, v128, s53                           // 0000000047B8: D1ED0080 00D70181
	v_perm_b32 v128, v130, v128, s54                           // 0000000047C0: D1ED0080 00DB0182
	v_perm_b32 v128, v131, v128, s55                           // 0000000047C8: D1ED0080 00DF0183
	v_perm_b32 v129, v133, v132, s53                           // 0000000047D0: D1ED0081 00D70985
	v_perm_b32 v129, v134, v129, s54                           // 0000000047D8: D1ED0081 00DB0386
	v_perm_b32 v129, v135, v129, s55                           // 0000000047E0: D1ED0081 00DF0387
	ds_write_b32 v13, v128 offset:25088                        // 0000000047E8: D81A6200 0000800D
	ds_write_b32 v13, v129 offset:26112                        // 0000000047F0: D81A6600 0000810D
	v_cvt_f32_i32_e32 v192, v192                               // 0000000047F8: 7F800BC0
	v_cvt_f32_i32_e32 v193, v193                               // 0000000047FC: 7F820BC1
	v_cvt_f32_i32_e32 v194, v194                               // 000000004800: 7F840BC2
	v_cvt_f32_i32_e32 v195, v195                               // 000000004804: 7F860BC3
	v_mul_f32_e32 v192, v58, v192                              // 000000004808: 0B81813A
	v_mul_f32_e32 v193, v58, v193                              // 00000000480C: 0B83833A
	v_mul_f32_e32 v194, v58, v194                              // 000000004810: 0B85853A
	v_mul_f32_e32 v195, v58, v195                              // 000000004814: 0B87873A
	v_rcp_f32_e32 v58, v62                                     // 000000004818: 7E74453E
	s_waitcnt lgkmcnt(0)                                       // 00000000481C: BF8CC07F
	s_barrier                                                  // 000000004820: BF8A0000
	ds_read_b64 v[128:129], v12 offset:25088                   // 000000004824: D8EC6200 8000000C
	ds_read_b64 v[130:131], v12 offset:25216                   // 00000000482C: D8EC6280 8200000C
	ds_read_b64 v[132:133], v12 offset:26112                   // 000000004834: D8EC6600 8400000C
	ds_read_b64 v[134:135], v12 offset:26240                   // 00000000483C: D8EC6680 8600000C
	v_add_f32_e32 v224, v224, v192                             // 000000004844: 03C181E0
	v_add_f32_e32 v225, v225, v193                             // 000000004848: 03C383E1
	v_add_f32_e32 v226, v226, v194                             // 00000000484C: 03C585E2
	v_add_f32_e32 v227, v227, v195                             // 000000004850: 03C787E3
	s_waitcnt lgkmcnt(3)                                       // 000000004854: BF8CC37F
	v_mov_b32_dpp v136, v128 row_shl:8 row_mask:0xf bank_mask:0xf bound_ctrl:1// 000000004858: 7F1002FA FF090880
	v_and_b32_e32 v128, v128, v9                               // 000000004860: 27001380
	v_mov_b32_dpp v137, v129 row_shl:8 row_mask:0xf bank_mask:0xf bound_ctrl:1// 000000004864: 7F1202FA FF090881
	v_and_b32_e32 v129, v129, v9                               // 00000000486C: 27021381
	s_waitcnt lgkmcnt(2)                                       // 000000004870: BF8CC27F
	v_mov_b32_dpp v138, v130 row_shl:8 row_mask:0xf bank_mask:0xf bound_ctrl:1// 000000004874: 7F1402FA FF090882
	v_and_b32_e32 v130, v130, v9                               // 00000000487C: 27041382
	v_mov_b32_dpp v139, v131 row_shl:8 row_mask:0xf bank_mask:0xf bound_ctrl:1// 000000004880: 7F1602FA FF090883
	v_and_b32_e32 v131, v131, v9                               // 000000004888: 27061383
	s_waitcnt lgkmcnt(1)                                       // 00000000488C: BF8CC17F
	v_mov_b32_dpp v140, v132 row_shl:8 row_mask:0xf bank_mask:0xf bound_ctrl:1// 000000004890: 7F1802FA FF090884
	v_and_b32_e32 v132, v132, v9                               // 000000004898: 27081384
	v_mov_b32_dpp v141, v133 row_shl:8 row_mask:0xf bank_mask:0xf bound_ctrl:1// 00000000489C: 7F1A02FA FF090885
	v_and_b32_e32 v133, v133, v9                               // 0000000048A4: 270A1385
	s_waitcnt lgkmcnt(0)                                       // 0000000048A8: BF8CC07F
	v_mov_b32_dpp v142, v134 row_shl:8 row_mask:0xf bank_mask:0xf bound_ctrl:1// 0000000048AC: 7F1C02FA FF090886
	v_and_b32_e32 v134, v134, v9                               // 0000000048B4: 270C1386
	v_mov_b32_dpp v143, v135 row_shl:8 row_mask:0xf bank_mask:0xf bound_ctrl:1// 0000000048B8: 7F1E02FA FF090887
	v_and_b32_e32 v135, v135, v9                               // 0000000048C0: 270E1387
	s_waitcnt vmcnt(15)                                        // 0000000048C4: BF8C0F7F
	v_mfma_i32_16x16x32_i8 v[192:195], a[96:97], v[128:129], 0 // 0000000048C8: D3D700C0 0A030160
	buffer_load_dwordx4 a[80:83], v33, s[20:23], 0 offen offset:1024// 0000000048D0: E05C1400 80855021
	v_mfma_i32_16x16x32_i8 v[192:195], a[98:99], v[130:131], v[192:195]// 0000000048D8: D3D700C0 0F030562
	v_mfma_i32_16x16x32_i8 v[192:195], a[100:101], v[132:133], v[192:195]// 0000000048E0: D3D700C0 0F030964
	v_mfma_i32_16x16x32_i8 v[192:195], a[102:103], v[134:135], v[192:195]// 0000000048E8: D3D700C0 0F030D66
	v_mfma_i32_16x16x32_i8 v[192:195], a[104:105], v[136:137], v[192:195]// 0000000048F0: D3D700C0 0F031168
	buffer_load_dwordx4 a[84:87], v34, s[20:23], 0 offen offset:1024// 0000000048F8: E05C1400 80855422
	v_mfma_i32_16x16x32_i8 v[192:195], a[106:107], v[138:139], v[192:195]// 000000004900: D3D700C0 0F03156A
	v_mfma_i32_16x16x32_i8 v[192:195], a[108:109], v[140:141], v[192:195]// 000000004908: D3D700C0 0F03196C
	v_mfma_i32_16x16x32_i8 v[192:195], a[110:111], v[142:143], v[192:195]// 000000004910: D3D700C0 0F031D6E
	v_mfma_i32_16x16x32_i8 v[196:199], a[112:113], v[128:129], 0// 000000004918: D3D700C4 0A030170
	buffer_load_dwordx4 a[88:91], v35, s[20:23], 0 offen offset:1024// 000000004920: E05C1400 80855823
	v_mfma_i32_16x16x32_i8 v[196:199], a[114:115], v[130:131], v[196:199]// 000000004928: D3D700C4 0F130572
	v_mfma_i32_16x16x32_i8 v[196:199], a[116:117], v[132:133], v[196:199]// 000000004930: D3D700C4 0F130974
	v_mfma_i32_16x16x32_i8 v[196:199], a[118:119], v[134:135], v[196:199]// 000000004938: D3D700C4 0F130D76
	v_mfma_i32_16x16x32_i8 v[196:199], a[120:121], v[136:137], v[196:199]// 000000004940: D3D700C4 0F131178
	buffer_load_dwordx4 a[92:95], v36, s[20:23], 0 offen offset:1024// 000000004948: E05C1400 80855C24
	v_mfma_i32_16x16x32_i8 v[196:199], a[122:123], v[138:139], v[196:199]// 000000004950: D3D700C4 0F13157A
	v_mfma_i32_16x16x32_i8 v[196:199], a[124:125], v[140:141], v[196:199]// 000000004958: D3D700C4 0F13197C
	s_lshr_b32 s57, s70, 4                                     // 000000004960: 8F398446
	s_add_u32 s57, 48, s57                                     // 000000004964: 803939B0
	v_mfma_i32_16x16x32_i8 v[196:199], a[126:127], v[142:143], v[196:199]// 000000004968: D3D700C4 0F131D7E
	s_cmp_ge_u32 s57, s73                                      // 000000004970: BF094939
	s_cselect_b32 s56, 0, s56                                  // 000000004974: 85383880
	v_add_u32_e32 v1, s56, v1                                  // 000000004978: 68020238
	s_addk_i32 s70, 0x100                                      // 00000000497C: B7460100
	s_cmp_lt_i32 s70, s71                                      // 000000004980: BF044746
	s_cbranch_scc0 label_05FB                                  // 000000004984: BF84FC19
	s_branch label_05FE                                        // 000000004988: BF82FC1B

000000000000498c <label_09E3>:
	s_lshr_b32 s60, s71, 4                                     // 00000000498C: 8F3C8447
	s_cmp_eq_i32 s60, s73                                      // 000000004990: BF00493C
	s_cbranch_scc1 label_0DD4                                  // 000000004994: BF8503EE
	s_lshr_b32 s60, s71, 8                                     // 000000004998: 8F3C8847
	s_and_b32 s60, s60, 1                                      // 00000000499C: 863C813C
	s_cmp_eq_i32 s60, 1                                        // 0000000049A0: BF00813C
	s_cbranch_scc1 label_0BDF                                  // 0000000049A4: BF8501F5
	s_waitcnt vmcnt(8) lgkmcnt(0)                              // 0000000049A8: BF8C0078
	s_barrier                                                  // 0000000049AC: BF8A0000
	v_mfma_i32_16x16x32_i8 v[128:131], a[0:1], v[96:97], 0     // 0000000049B0: D3D70080 0A02C100
	v_mfma_i32_16x16x32_i8 v[128:131], a[2:3], v[98:99], v[128:131]// 0000000049B8: D3D70080 0E02C502
	v_mfma_i32_16x16x32_i8 v[128:131], a[4:5], v[100:101], v[128:131]// 0000000049C0: D3D70080 0E02C904
	v_mfma_i32_16x16x32_i8 v[128:131], a[6:7], v[102:103], v[128:131]// 0000000049C8: D3D70080 0E02CD06
	v_mfma_i32_16x16x32_i8 v[132:135], a[8:9], v[96:97], 0     // 0000000049D0: D3D70084 0A02C108
	v_mfma_i32_16x16x32_i8 v[132:135], a[10:11], v[98:99], v[132:135]// 0000000049D8: D3D70084 0E12C50A
	v_mfma_i32_16x16x32_i8 v[132:135], a[12:13], v[100:101], v[132:135]// 0000000049E0: D3D70084 0E12C90C
	v_mfma_i32_16x16x32_i8 v[132:135], a[14:15], v[102:103], v[132:135]// 0000000049E8: D3D70084 0E12CD0E
	v_mfma_i32_16x16x32_i8 v[136:139], a[16:17], v[96:97], 0   // 0000000049F0: D3D70088 0A02C110
	v_mfma_i32_16x16x32_i8 v[136:139], a[18:19], v[98:99], v[136:139]// 0000000049F8: D3D70088 0E22C512
	v_mfma_i32_16x16x32_i8 v[136:139], a[20:21], v[100:101], v[136:139]// 000000004A00: D3D70088 0E22C914
	v_mfma_i32_16x16x32_i8 v[136:139], a[22:23], v[102:103], v[136:139]// 000000004A08: D3D70088 0E22CD16
	v_mfma_i32_16x16x32_i8 v[140:143], a[24:25], v[96:97], 0   // 000000004A10: D3D7008C 0A02C118
	v_mfma_i32_16x16x32_i8 v[140:143], a[26:27], v[98:99], v[140:143]// 000000004A18: D3D7008C 0E32C51A
	v_mfma_i32_16x16x32_i8 v[140:143], a[28:29], v[100:101], v[140:143]// 000000004A20: D3D7008C 0E32C91C
	v_mfma_i32_16x16x32_i8 v[140:143], a[30:31], v[102:103], v[140:143]// 000000004A28: D3D7008C 0E32CD1E
	v_mov_b32_dpp v41, v52 row_shr:4 row_mask:0xf bank_mask:0xf// 000000004A30: 7E5202FA FF011434
	v_mov_b32_dpp v42, v52 row_shl:4 row_mask:0xf bank_mask:0xf// 000000004A38: 7E5402FA FF010434
	v_cndmask_b32_e64 v248, v52, v41, s[44:45]                 // 000000004A40: D10000F8 00B25334
	v_cndmask_b32_e64 v249, v42, v52, s[44:45]                 // 000000004A48: D10000F9 00B2692A
	v_mov_b32_dpp v41, v72 row_shr:4 row_mask:0xf bank_mask:0xf// 000000004A50: 7E5202FA FF011448
	v_mov_b32_dpp v42, v72 row_shl:4 row_mask:0xf bank_mask:0xf// 000000004A58: 7E5402FA FF010448
	v_cndmask_b32_e64 v252, v72, v41, s[44:45]                 // 000000004A60: D10000FC 00B25348
	v_cndmask_b32_e64 v253, v42, v72, s[44:45]                 // 000000004A68: D10000FD 00B2912A
	v_or_b32_dpp v128, v136, v128 row_shr:8 row_mask:0xf bank_mask:0xf bound_ctrl:1// 000000004A70: 290100FA FF091888
	v_or_b32_dpp v129, v137, v129 row_shr:8 row_mask:0xf bank_mask:0xf bound_ctrl:1// 000000004A78: 290302FA FF091889
	v_or_b32_dpp v130, v138, v130 row_shr:8 row_mask:0xf bank_mask:0xf bound_ctrl:1// 000000004A80: 290504FA FF09188A
	v_or_b32_dpp v131, v139, v131 row_shr:8 row_mask:0xf bank_mask:0xf bound_ctrl:1// 000000004A88: 290706FA FF09188B
	v_or_b32_dpp v132, v140, v132 row_shr:8 row_mask:0xf bank_mask:0xf bound_ctrl:1// 000000004A90: 290908FA FF09188C
	v_or_b32_dpp v133, v141, v133 row_shr:8 row_mask:0xf bank_mask:0xf bound_ctrl:1// 000000004A98: 290B0AFA FF09188D
	v_or_b32_dpp v134, v142, v134 row_shr:8 row_mask:0xf bank_mask:0xf bound_ctrl:1// 000000004AA0: 290D0CFA FF09188E
	v_or_b32_dpp v135, v143, v135 row_shr:8 row_mask:0xf bank_mask:0xf bound_ctrl:1// 000000004AA8: 290F0EFA FF09188F
	v_cvt_f32_i32_e32 v128, v128                               // 000000004AB0: 7F000B80
	v_cvt_f32_i32_e32 v129, v129                               // 000000004AB4: 7F020B81
	v_cvt_f32_i32_e32 v130, v130                               // 000000004AB8: 7F040B82
	v_cvt_f32_i32_e32 v131, v131                               // 000000004ABC: 7F060B83
	v_cvt_f32_i32_e32 v132, v132                               // 000000004AC0: 7F080B84
	v_cvt_f32_i32_e32 v133, v133                               // 000000004AC4: 7F0A0B85
	v_cvt_f32_i32_e32 v134, v134                               // 000000004AC8: 7F0C0B86
	v_cvt_f32_i32_e32 v135, v135                               // 000000004ACC: 7F0E0B87
	v_mul_f32_e32 v128, v54, v128                              // 000000004AD0: 0B010136
	v_mul_f32_e32 v129, v54, v129                              // 000000004AD4: 0B030336
	v_mul_f32_e32 v130, v54, v130                              // 000000004AD8: 0B050536
	v_mul_f32_e32 v131, v54, v131                              // 000000004ADC: 0B070736
	v_mul_f32_e32 v132, v54, v132                              // 000000004AE0: 0B090936
	v_mul_f32_e32 v133, v54, v133                              // 000000004AE4: 0B0B0B36
	v_mul_f32_e32 v134, v54, v134                              // 000000004AE8: 0B0D0D36
	v_mul_f32_e32 v135, v54, v135                              // 000000004AEC: 0B0F0F36
	v_mul_f32_dpp v128, v248, v128 quad_perm:[0,0,0,0] row_mask:0xf bank_mask:0xf// 000000004AF0: 0B0100FA FF0000F8
	v_mul_f32_dpp v129, v248, v129 quad_perm:[1,1,1,1] row_mask:0xf bank_mask:0xf// 000000004AF8: 0B0302FA FF0055F8
	v_mul_f32_dpp v130, v248, v130 quad_perm:[2,2,2,2] row_mask:0xf bank_mask:0xf// 000000004B00: 0B0504FA FF00AAF8
	v_mul_f32_dpp v131, v248, v131 quad_perm:[3,3,3,3] row_mask:0xf bank_mask:0xf// 000000004B08: 0B0706FA FF00FFF8
	v_mul_f32_dpp v132, v249, v132 quad_perm:[0,0,0,0] row_mask:0xf bank_mask:0xf// 000000004B10: 0B0908FA FF0000F9
	v_mul_f32_dpp v133, v249, v133 quad_perm:[1,1,1,1] row_mask:0xf bank_mask:0xf// 000000004B18: 0B0B0AFA FF0055F9
	v_mul_f32_dpp v134, v249, v134 quad_perm:[2,2,2,2] row_mask:0xf bank_mask:0xf// 000000004B20: 0B0D0CFA FF00AAF9
	v_mul_f32_dpp v135, v249, v135 quad_perm:[3,3,3,3] row_mask:0xf bank_mask:0xf// 000000004B28: 0B0F0EFA FF00FFF9
	s_and_b32 s60, s72, 0xff                                   // 000000004B30: 863CFF48 000000FF
	v_mov_b32_e32 v79, s60                                     // 000000004B38: 7E9E023C
	v_lshrrev_b32_e32 v240, 4, v0                              // 000000004B3C: 21E00084
	v_mul_i32_i24_e32 v240, 4, v240                            // 000000004B40: 0DE1E084
	v_and_b32_e32 v41, 15, v0                                  // 000000004B44: 2652008F
	v_lshrrev_b32_e32 v41, 3, v41                              // 000000004B48: 20525283
	v_mul_i32_i24_e32 v41, 0x80, v41                           // 000000004B4C: 0C5252FF 00000080
	v_add_u32_e32 v240, v41, v240                              // 000000004B54: 69E1E129
	s_mul_i32 s60, s7, 16                                      // 000000004B58: 923C9007
	v_add_u32_e32 v240, s60, v240                              // 000000004B5C: 69E1E03C
	v_add_u32_e32 v241, 1, v240                                // 000000004B60: 69E3E081
	v_add_u32_e32 v242, 2, v240                                // 000000004B64: 69E5E082
	v_add_u32_e32 v243, 3, v240                                // 000000004B68: 69E7E083
	v_cmp_lt_u32_e64 s[40:41], v240, v79                       // 000000004B6C: D0C90028 00029FF0
	v_add_u32_e32 v240, 64, v240                               // 000000004B74: 69E1E0C0
	s_nop 0                                                    // 000000004B78: BF800000
	v_cndmask_b32_e64 v128, v69, v128, s[40:41]                // 000000004B7C: D1000080 00A30145
	v_cmp_lt_u32_e64 s[40:41], v241, v79                       // 000000004B84: D0C90028 00029FF1
	v_add_u32_e32 v241, 64, v241                               // 000000004B8C: 69E3E2C0
	s_nop 0                                                    // 000000004B90: BF800000
	v_cndmask_b32_e64 v129, v69, v129, s[40:41]                // 000000004B94: D1000081 00A30345
	v_cmp_lt_u32_e64 s[40:41], v242, v79                       // 000000004B9C: D0C90028 00029FF2
	v_add_u32_e32 v242, 64, v242                               // 000000004BA4: 69E5E4C0
	s_nop 0                                                    // 000000004BA8: BF800000
	v_cndmask_b32_e64 v130, v69, v130, s[40:41]                // 000000004BAC: D1000082 00A30545
	v_cmp_lt_u32_e64 s[40:41], v243, v79                       // 000000004BB4: D0C90028 00029FF3
	v_add_u32_e32 v243, 64, v243                               // 000000004BBC: 69E7E6C0
	s_nop 0                                                    // 000000004BC0: BF800000
	v_cndmask_b32_e64 v131, v69, v131, s[40:41]                // 000000004BC4: D1000083 00A30745
	v_cmp_lt_u32_e64 s[40:41], v240, v79                       // 000000004BCC: D0C90028 00029FF0
	v_add_u32_e32 v240, 64, v240                               // 000000004BD4: 69E1E0C0
	s_nop 0                                                    // 000000004BD8: BF800000
	v_cndmask_b32_e64 v132, v69, v132, s[40:41]                // 000000004BDC: D1000084 00A30945
	v_cmp_lt_u32_e64 s[40:41], v241, v79                       // 000000004BE4: D0C90028 00029FF1
	v_add_u32_e32 v241, 64, v241                               // 000000004BEC: 69E3E2C0
	s_nop 0                                                    // 000000004BF0: BF800000
	v_cndmask_b32_e64 v133, v69, v133, s[40:41]                // 000000004BF4: D1000085 00A30B45
	v_cmp_lt_u32_e64 s[40:41], v242, v79                       // 000000004BFC: D0C90028 00029FF2
	v_add_u32_e32 v242, 64, v242                               // 000000004C04: 69E5E4C0
	s_nop 0                                                    // 000000004C08: BF800000
	v_cndmask_b32_e64 v134, v69, v134, s[40:41]                // 000000004C0C: D1000086 00A30D45
	v_cmp_lt_u32_e64 s[40:41], v243, v79                       // 000000004C14: D0C90028 00029FF3
	v_add_u32_e32 v243, 64, v243                               // 000000004C1C: 69E7E6C0
	s_nop 0                                                    // 000000004C20: BF800000
	v_cndmask_b32_e64 v135, v69, v135, s[40:41]                // 000000004C24: D1000087 00A30F45
	v_mov_b32_e32 v62, v128                                    // 000000004C2C: 7E7C0380
	v_max3_f32 v62, v128, v129, v62                            // 000000004C30: D1D3003E 04FB0380
	v_max3_f32 v62, v130, v131, v62                            // 000000004C38: D1D3003E 04FB0782
	v_max3_f32 v62, v132, v133, v62                            // 000000004C40: D1D3003E 04FB0B84
	v_max3_f32 v62, v134, v135, v62                            // 000000004C48: D1D3003E 04FB0F86
	ds_write_b32 v11, v62 offset:16896                         // 000000004C50: D81A4200 00003E0B
	v_mul_u32_u24_dpp v41, v20, v68 row_newbcast:1 row_mask:0xf bank_mask:0xf// 000000004C58: 105288FA FF015114
	v_mul_u32_u24_dpp v42, v20, v68 row_newbcast:5 row_mask:0xf bank_mask:0xf// 000000004C60: 105488FA FF015514
	v_mul_u32_u24_dpp v43, v20, v68 row_newbcast:9 row_mask:0xf bank_mask:0xf// 000000004C68: 105688FA FF015914
	v_mul_u32_u24_dpp v44, v20, v68 row_newbcast:13 row_mask:0xf bank_mask:0xf// 000000004C70: 105888FA FF015D14
	v_add_u32_e32 v37, v41, v7                                 // 000000004C78: 684A0F29
	v_add_u32_e32 v38, v42, v7                                 // 000000004C7C: 684C0F2A
	v_add_u32_e32 v39, v43, v7                                 // 000000004C80: 684E0F2B
	v_add_u32_e32 v40, v44, v7                                 // 000000004C84: 68500F2C
	s_waitcnt lgkmcnt(0)                                       // 000000004C88: BF8CC07F
	s_barrier                                                  // 000000004C8C: BF8A0000
	ds_read_b32 v80, v10 offset:16896                          // 000000004C90: D86C4200 5000000A
	ds_read_b32 v81, v10 offset:16960                          // 000000004C98: D86C4240 5100000A
	ds_read_b32 v82, v10 offset:17024                          // 000000004CA0: D86C4280 5200000A
	ds_read_b32 v83, v10 offset:17088                          // 000000004CA8: D86C42C0 5300000A
	ds_read_b32 v84, v10 offset:17152                          // 000000004CB0: D86C4300 5400000A
	ds_read_b32 v85, v10 offset:17216                          // 000000004CB8: D86C4340 5500000A
	ds_read_b32 v86, v10 offset:17280                          // 000000004CC0: D86C4380 5600000A
	ds_read_b32 v87, v10 offset:17344                          // 000000004CC8: D86C43C0 5700000A
	ds_read_b32 v88, v10 offset:17408                          // 000000004CD0: D86C4400 5800000A
	ds_read_b32 v89, v10 offset:17472                          // 000000004CD8: D86C4440 5900000A
	ds_read_b32 v90, v10 offset:17536                          // 000000004CE0: D86C4480 5A00000A
	ds_read_b32 v91, v10 offset:17600                          // 000000004CE8: D86C44C0 5B00000A
	ds_read_b32 v92, v10 offset:17664                          // 000000004CF0: D86C4500 5C00000A
	ds_read_b32 v93, v10 offset:17728                          // 000000004CF8: D86C4540 5D00000A
	ds_read_b32 v94, v10 offset:17792                          // 000000004D00: D86C4580 5E00000A
	ds_read_b32 v95, v10 offset:17856                          // 000000004D08: D86C45C0 5F00000A
	v_mul_f32_e32 v224, v63, v224                              // 000000004D10: 0BC1C13F
	v_mul_f32_e32 v225, v63, v225                              // 000000004D14: 0BC3C33F
	v_mul_f32_e32 v226, v63, v226                              // 000000004D18: 0BC5C53F
	v_mul_f32_e32 v227, v63, v227                              // 000000004D1C: 0BC7C73F
	v_or_b32_dpp v192, v196, v192 row_shr:8 row_mask:0xf bank_mask:0xf bound_ctrl:1// 000000004D20: 298180FA FF0918C4
	v_or_b32_dpp v193, v197, v193 row_shr:8 row_mask:0xf bank_mask:0xf bound_ctrl:1// 000000004D28: 298382FA FF0918C5
	v_or_b32_dpp v194, v198, v194 row_shr:8 row_mask:0xf bank_mask:0xf bound_ctrl:1// 000000004D30: 298584FA FF0918C6
	v_or_b32_dpp v195, v199, v195 row_shr:8 row_mask:0xf bank_mask:0xf bound_ctrl:1// 000000004D38: 298786FA FF0918C7
	s_waitcnt lgkmcnt(0)                                       // 000000004D40: BF8CC07F
	v_max3_f32 v62, v80, v81, v62                              // 000000004D44: D1D3003E 04FAA350
	v_max3_f32 v62, v82, v83, v62                              // 000000004D4C: D1D3003E 04FAA752
	v_max3_f32 v62, v84, v85, v62                              // 000000004D54: D1D3003E 04FAAB54
	v_max3_f32 v62, v86, v87, v62                              // 000000004D5C: D1D3003E 04FAAF56
	v_max3_f32 v62, v88, v89, v62                              // 000000004D64: D1D3003E 04FAB358
	v_max3_f32 v62, v90, v91, v62                              // 000000004D6C: D1D3003E 04FAB75A
	v_max3_f32 v62, v92, v93, v62                              // 000000004D74: D1D3003E 04FABB5C
	v_max3_f32 v62, v94, v95, v62                              // 000000004D7C: D1D3003E 04FABF5E
	v_cmp_eq_u32_e64 s[40:41], v69, v14                        // 000000004D84: D0CA0028 00021D45
	s_nop 1                                                    // 000000004D8C: BF800001
	v_mov_b32_dpp v41, v62 row_ror:8 row_mask:0xf bank_mask:0xf// 000000004D90: 7E5202FA FF01283E
	v_max_f32_e32 v62, v62, v41                                // 000000004D98: 167C533E
	v_max_f32_e32 v18, v62, v14                                // 000000004D9C: 16241D3E
	v_mul_f32_e32 v67, s64, v18                                // 000000004DA0: 0A862440
	v_fma_f32 v128, v128, s64, -v67                            // 000000004DA4: D1CB0080 850C8180
	v_fma_f32 v129, v129, s64, -v67                            // 000000004DAC: D1CB0081 850C8181
	v_fma_f32 v130, v130, s64, -v67                            // 000000004DB4: D1CB0082 850C8182
	v_fma_f32 v131, v131, s64, -v67                            // 000000004DBC: D1CB0083 850C8183
	v_fma_f32 v132, v132, s64, -v67                            // 000000004DC4: D1CB0084 850C8184
	v_fma_f32 v133, v133, s64, -v67                            // 000000004DCC: D1CB0085 850C8185
	v_fma_f32 v134, v134, s64, -v67                            // 000000004DD4: D1CB0086 850C8186
	v_fma_f32 v135, v135, s64, -v67                            // 000000004DDC: D1CB0087 850C8187
	v_exp_f32_e32 v128, v128                                   // 000000004DE4: 7F004180
	v_exp_f32_e32 v129, v129                                   // 000000004DE8: 7F024181
	v_exp_f32_e32 v130, v130                                   // 000000004DEC: 7F044182
	v_exp_f32_e32 v131, v131                                   // 000000004DF0: 7F064183
	v_exp_f32_e32 v132, v132                                   // 000000004DF4: 7F084184
	v_exp_f32_e32 v133, v133                                   // 000000004DF8: 7F0A4185
	v_exp_f32_e32 v134, v134                                   // 000000004DFC: 7F0C4186
	v_exp_f32_e32 v135, v135                                   // 000000004E00: 7F0E4187
	v_mul_f32_dpp v240, v252, v128 quad_perm:[0,0,0,0] row_mask:0xf bank_mask:0xf// 000000004E04: 0BE100FA FF0000FC
	v_mul_f32_dpp v241, v252, v129 quad_perm:[1,1,1,1] row_mask:0xf bank_mask:0xf// 000000004E0C: 0BE302FA FF0055FC
	v_mul_f32_dpp v242, v252, v130 quad_perm:[2,2,2,2] row_mask:0xf bank_mask:0xf// 000000004E14: 0BE504FA FF00AAFC
	v_mul_f32_dpp v243, v252, v131 quad_perm:[3,3,3,3] row_mask:0xf bank_mask:0xf// 000000004E1C: 0BE706FA FF00FFFC
	v_mul_f32_dpp v244, v253, v132 quad_perm:[0,0,0,0] row_mask:0xf bank_mask:0xf// 000000004E24: 0BE908FA FF0000FD
	v_mul_f32_dpp v245, v253, v133 quad_perm:[1,1,1,1] row_mask:0xf bank_mask:0xf// 000000004E2C: 0BEB0AFA FF0055FD
	v_mul_f32_dpp v246, v253, v134 quad_perm:[2,2,2,2] row_mask:0xf bank_mask:0xf// 000000004E34: 0BED0CFA FF00AAFD
	v_mul_f32_dpp v247, v253, v135 quad_perm:[3,3,3,3] row_mask:0xf bank_mask:0xf// 000000004E3C: 0BEF0EFA FF00FFFD
	v_mov_b32_e32 v62, 0x358637bd                              // 000000004E44: 7E7C02FF 358637BD
	v_max3_f32 v62, |v240|, |v241|, v62                        // 000000004E4C: D1D3033E 04FBE3F0
	v_max3_f32 v62, |v242|, |v243|, v62                        // 000000004E54: D1D3033E 04FBE7F2
	v_max3_f32 v62, |v244|, |v245|, v62                        // 000000004E5C: D1D3033E 04FBEBF4
	v_max3_f32 v62, |v246|, |v247|, v62                        // 000000004E64: D1D3033E 04FBEFF6
	ds_write_b32 v11, v62 offset:20992                         // 000000004E6C: D81A5200 00003E0B
	v_sub_f32_e32 v63, v14, v18                                // 000000004E74: 047E250E
	v_cndmask_b32_e64 v63, v63, 0, s[40:41]                    // 000000004E78: D100003F 00A1013F
	v_mov_b32_e32 v14, v18                                     // 000000004E80: 7E1C0312
	v_mul_f32_e32 v63, s64, v63                                // 000000004E84: 0A7E7E40
	v_exp_f32_e32 v63, v63                                     // 000000004E88: 7E7E413F
	s_waitcnt lgkmcnt(0)                                       // 000000004E8C: BF8CC07F
	s_barrier                                                  // 000000004E90: BF8A0000
	ds_read_b32 v80, v10 offset:20992                          // 000000004E94: D86C5200 5000000A
	ds_read_b32 v81, v10 offset:21056                          // 000000004E9C: D86C5240 5100000A
	ds_read_b32 v82, v10 offset:21120                          // 000000004EA4: D86C5280 5200000A
	ds_read_b32 v83, v10 offset:21184                          // 000000004EAC: D86C52C0 5300000A
	ds_read_b32 v84, v10 offset:21248                          // 000000004EB4: D86C5300 5400000A
	ds_read_b32 v85, v10 offset:21312                          // 000000004EBC: D86C5340 5500000A
	ds_read_b32 v86, v10 offset:21376                          // 000000004EC4: D86C5380 5600000A
	ds_read_b32 v87, v10 offset:21440                          // 000000004ECC: D86C53C0 5700000A
	ds_read_b32 v88, v10 offset:21504                          // 000000004ED4: D86C5400 5800000A
	ds_read_b32 v89, v10 offset:21568                          // 000000004EDC: D86C5440 5900000A
	ds_read_b32 v90, v10 offset:21632                          // 000000004EE4: D86C5480 5A00000A
	ds_read_b32 v91, v10 offset:21696                          // 000000004EEC: D86C54C0 5B00000A
	ds_read_b32 v92, v10 offset:21760                          // 000000004EF4: D86C5500 5C00000A
	ds_read_b32 v93, v10 offset:21824                          // 000000004EFC: D86C5540 5D00000A
	ds_read_b32 v94, v10 offset:21888                          // 000000004F04: D86C5580 5E00000A
	ds_read_b32 v95, v10 offset:21952                          // 000000004F0C: D86C55C0 5F00000A
	v_mul_f32_e32 v47, v63, v47                                // 000000004F14: 0A5E5F3F
	v_mov_b32_e32 v51, v128                                    // 000000004F18: 7E660380
	v_add_f32_e32 v51, v129, v51                               // 000000004F1C: 02666781
	v_add_f32_e32 v51, v130, v51                               // 000000004F20: 02666782
	v_add_f32_e32 v51, v131, v51                               // 000000004F24: 02666783
	v_add_f32_e32 v51, v132, v51                               // 000000004F28: 02666784
	v_add_f32_e32 v51, v133, v51                               // 000000004F2C: 02666785
	v_add_f32_e32 v51, v134, v51                               // 000000004F30: 02666786
	v_add_f32_e32 v51, v135, v51                               // 000000004F34: 02666787
	v_add_f32_e32 v47, v51, v47                                // 000000004F38: 025E5F33
	s_waitcnt lgkmcnt(0)                                       // 000000004F3C: BF8CC07F
	v_max3_f32 v62, |v80|, |v81|, v62                          // 000000004F40: D1D3033E 04FAA350
	v_max3_f32 v62, |v82|, |v83|, v62                          // 000000004F48: D1D3033E 04FAA752
	v_max3_f32 v62, |v84|, |v85|, v62                          // 000000004F50: D1D3033E 04FAAB54
	v_max3_f32 v62, |v86|, |v87|, v62                          // 000000004F58: D1D3033E 04FAAF56
	v_max3_f32 v62, |v88|, |v89|, v62                          // 000000004F60: D1D3033E 04FAB358
	v_max3_f32 v62, |v90|, |v91|, v62                          // 000000004F68: D1D3033E 04FAB75A
	v_max3_f32 v62, |v92|, |v93|, v62                          // 000000004F70: D1D3033E 04FABB5C
	v_max3_f32 v62, |v94|, |v95|, v62                          // 000000004F78: D1D3033E 04FABF5E
	s_nop 2                                                    // 000000004F80: BF800002
	v_mov_b32_dpp v41, v62 row_ror:8 row_mask:0xf bank_mask:0xf// 000000004F84: 7E5202FA FF01283E
	v_max_f32_e32 v62, v62, v41                                // 000000004F8C: 167C533E
	v_rcp_f32_e32 v62, v62                                     // 000000004F90: 7E7C453E
	s_nop 1                                                    // 000000004F94: BF800001
	v_mul_f32_e32 v62, 0x42fe0000, v62                         // 000000004F98: 0A7C7CFF 42FE0000
	v_mul_f32_e32 v128, v62, v240                              // 000000004FA0: 0B01E13E
	v_mul_f32_e32 v129, v62, v241                              // 000000004FA4: 0B03E33E
	v_mul_f32_e32 v130, v62, v242                              // 000000004FA8: 0B05E53E
	v_mul_f32_e32 v131, v62, v243                              // 000000004FAC: 0B07E73E
	v_mul_f32_e32 v132, v62, v244                              // 000000004FB0: 0B09E93E
	v_mul_f32_e32 v133, v62, v245                              // 000000004FB4: 0B0BEB3E
	v_mul_f32_e32 v134, v62, v246                              // 000000004FB8: 0B0DED3E
	v_mul_f32_e32 v135, v62, v247                              // 000000004FBC: 0B0FEF3E
	v_cvt_i32_f32_e32 v128, v128                               // 000000004FC0: 7F001180
	v_cvt_i32_f32_e32 v129, v129                               // 000000004FC4: 7F021181
	v_cvt_i32_f32_e32 v130, v130                               // 000000004FC8: 7F041182
	v_cvt_i32_f32_e32 v131, v131                               // 000000004FCC: 7F061183
	v_cvt_i32_f32_e32 v132, v132                               // 000000004FD0: 7F081184
	v_cvt_i32_f32_e32 v133, v133                               // 000000004FD4: 7F0A1185
	v_cvt_i32_f32_e32 v134, v134                               // 000000004FD8: 7F0C1186
	v_cvt_i32_f32_e32 v135, v135                               // 000000004FDC: 7F0E1187
	v_perm_b32 v128, v129, v128, s53                           // 000000004FE0: D1ED0080 00D70181
	v_perm_b32 v128, v130, v128, s54                           // 000000004FE8: D1ED0080 00DB0182
	v_perm_b32 v128, v131, v128, s55                           // 000000004FF0: D1ED0080 00DF0183
	v_perm_b32 v129, v133, v132, s53                           // 000000004FF8: D1ED0081 00D70985
	v_perm_b32 v129, v134, v129, s54                           // 000000005000: D1ED0081 00DB0386
	v_perm_b32 v129, v135, v129, s55                           // 000000005008: D1ED0081 00DF0387
	ds_write_b32 v13, v128 offset:25088                        // 000000005010: D81A6200 0000800D
	ds_write_b32 v13, v129 offset:26112                        // 000000005018: D81A6600 0000810D
	v_cvt_f32_i32_e32 v192, v192                               // 000000005020: 7F800BC0
	v_cvt_f32_i32_e32 v193, v193                               // 000000005024: 7F820BC1
	v_cvt_f32_i32_e32 v194, v194                               // 000000005028: 7F840BC2
	v_cvt_f32_i32_e32 v195, v195                               // 00000000502C: 7F860BC3
	v_mul_f32_e32 v192, v58, v192                              // 000000005030: 0B81813A
	v_mul_f32_e32 v193, v58, v193                              // 000000005034: 0B83833A
	v_mul_f32_e32 v194, v58, v194                              // 000000005038: 0B85853A
	v_mul_f32_e32 v195, v58, v195                              // 00000000503C: 0B87873A
	v_rcp_f32_e32 v58, v62                                     // 000000005040: 7E74453E
	s_waitcnt lgkmcnt(0)                                       // 000000005044: BF8CC07F
	s_barrier                                                  // 000000005048: BF8A0000
	ds_read_b64 v[128:129], v12 offset:25088                   // 00000000504C: D8EC6200 8000000C
	ds_read_b64 v[130:131], v12 offset:25216                   // 000000005054: D8EC6280 8200000C
	ds_read_b64 v[132:133], v12 offset:26112                   // 00000000505C: D8EC6600 8400000C
	ds_read_b64 v[134:135], v12 offset:26240                   // 000000005064: D8EC6680 8600000C
	v_add_f32_e32 v224, v224, v192                             // 00000000506C: 03C181E0
	v_add_f32_e32 v225, v225, v193                             // 000000005070: 03C383E1
	v_add_f32_e32 v226, v226, v194                             // 000000005074: 03C585E2
	v_add_f32_e32 v227, v227, v195                             // 000000005078: 03C787E3
	s_waitcnt lgkmcnt(3)                                       // 00000000507C: BF8CC37F
	v_mov_b32_dpp v136, v128 row_shl:8 row_mask:0xf bank_mask:0xf bound_ctrl:1// 000000005080: 7F1002FA FF090880
	v_and_b32_e32 v128, v128, v9                               // 000000005088: 27001380
	v_mov_b32_dpp v137, v129 row_shl:8 row_mask:0xf bank_mask:0xf bound_ctrl:1// 00000000508C: 7F1202FA FF090881
	v_and_b32_e32 v129, v129, v9                               // 000000005094: 27021381
	s_waitcnt lgkmcnt(2)                                       // 000000005098: BF8CC27F
	v_mov_b32_dpp v138, v130 row_shl:8 row_mask:0xf bank_mask:0xf bound_ctrl:1// 00000000509C: 7F1402FA FF090882
	v_and_b32_e32 v130, v130, v9                               // 0000000050A4: 27041382
	v_mov_b32_dpp v139, v131 row_shl:8 row_mask:0xf bank_mask:0xf bound_ctrl:1// 0000000050A8: 7F1602FA FF090883
	v_and_b32_e32 v131, v131, v9                               // 0000000050B0: 27061383
	s_waitcnt lgkmcnt(1)                                       // 0000000050B4: BF8CC17F
	v_mov_b32_dpp v140, v132 row_shl:8 row_mask:0xf bank_mask:0xf bound_ctrl:1// 0000000050B8: 7F1802FA FF090884
	v_and_b32_e32 v132, v132, v9                               // 0000000050C0: 27081384
	v_mov_b32_dpp v141, v133 row_shl:8 row_mask:0xf bank_mask:0xf bound_ctrl:1// 0000000050C4: 7F1A02FA FF090885
	v_and_b32_e32 v133, v133, v9                               // 0000000050CC: 270A1385
	s_waitcnt lgkmcnt(0)                                       // 0000000050D0: BF8CC07F
	v_mov_b32_dpp v142, v134 row_shl:8 row_mask:0xf bank_mask:0xf bound_ctrl:1// 0000000050D4: 7F1C02FA FF090886
	v_and_b32_e32 v134, v134, v9                               // 0000000050DC: 270C1386
	v_mov_b32_dpp v143, v135 row_shl:8 row_mask:0xf bank_mask:0xf bound_ctrl:1// 0000000050E0: 7F1E02FA FF090887
	v_and_b32_e32 v135, v135, v9                               // 0000000050E8: 270E1387
	s_waitcnt vmcnt(0)                                         // 0000000050EC: BF8C0F70
	s_barrier                                                  // 0000000050F0: BF8A0000
	v_mfma_i32_16x16x32_i8 v[192:195], a[64:65], v[128:129], 0 // 0000000050F4: D3D700C0 0A030140
	v_mfma_i32_16x16x32_i8 v[192:195], a[66:67], v[130:131], v[192:195]// 0000000050FC: D3D700C0 0F030542
	v_mfma_i32_16x16x32_i8 v[192:195], a[68:69], v[132:133], v[192:195]// 000000005104: D3D700C0 0F030944
	v_mfma_i32_16x16x32_i8 v[192:195], a[70:71], v[134:135], v[192:195]// 00000000510C: D3D700C0 0F030D46
	v_mfma_i32_16x16x32_i8 v[192:195], a[72:73], v[136:137], v[192:195]// 000000005114: D3D700C0 0F031148
	v_mfma_i32_16x16x32_i8 v[192:195], a[74:75], v[138:139], v[192:195]// 00000000511C: D3D700C0 0F03154A
	v_mfma_i32_16x16x32_i8 v[192:195], a[76:77], v[140:141], v[192:195]// 000000005124: D3D700C0 0F03194C
	v_mfma_i32_16x16x32_i8 v[192:195], a[78:79], v[142:143], v[192:195]// 00000000512C: D3D700C0 0F031D4E
	v_mfma_i32_16x16x32_i8 v[196:199], a[80:81], v[128:129], 0 // 000000005134: D3D700C4 0A030150
	v_mfma_i32_16x16x32_i8 v[196:199], a[82:83], v[130:131], v[196:199]// 00000000513C: D3D700C4 0F130552
	v_mfma_i32_16x16x32_i8 v[196:199], a[84:85], v[132:133], v[196:199]// 000000005144: D3D700C4 0F130954
	v_mfma_i32_16x16x32_i8 v[196:199], a[86:87], v[134:135], v[196:199]// 00000000514C: D3D700C4 0F130D56
	v_mfma_i32_16x16x32_i8 v[196:199], a[88:89], v[136:137], v[196:199]// 000000005154: D3D700C4 0F131158
	v_mfma_i32_16x16x32_i8 v[196:199], a[90:91], v[138:139], v[196:199]// 00000000515C: D3D700C4 0F13155A
	v_mfma_i32_16x16x32_i8 v[196:199], a[92:93], v[140:141], v[196:199]// 000000005164: D3D700C4 0F13195C
	v_mfma_i32_16x16x32_i8 v[196:199], a[94:95], v[142:143], v[196:199]// 00000000516C: D3D700C4 0F131D5E
	s_nop 4                                                    // 000000005174: BF800004
	s_branch label_0DD4                                        // 000000005178: BF8201F5

000000000000517c <label_0BDF>:
	s_waitcnt vmcnt(8) lgkmcnt(0)                              // 00000000517C: BF8C0078
	s_barrier                                                  // 000000005180: BF8A0000
	v_mfma_i32_16x16x32_i8 v[128:131], a[32:33], v[96:97], 0   // 000000005184: D3D70080 0A02C120
	v_mfma_i32_16x16x32_i8 v[128:131], a[34:35], v[98:99], v[128:131]// 00000000518C: D3D70080 0E02C522
	v_mfma_i32_16x16x32_i8 v[128:131], a[36:37], v[100:101], v[128:131]// 000000005194: D3D70080 0E02C924
	v_mfma_i32_16x16x32_i8 v[128:131], a[38:39], v[102:103], v[128:131]// 00000000519C: D3D70080 0E02CD26
	v_mfma_i32_16x16x32_i8 v[132:135], a[40:41], v[96:97], 0   // 0000000051A4: D3D70084 0A02C128
	v_mfma_i32_16x16x32_i8 v[132:135], a[42:43], v[98:99], v[132:135]// 0000000051AC: D3D70084 0E12C52A
	v_mfma_i32_16x16x32_i8 v[132:135], a[44:45], v[100:101], v[132:135]// 0000000051B4: D3D70084 0E12C92C
	v_mfma_i32_16x16x32_i8 v[132:135], a[46:47], v[102:103], v[132:135]// 0000000051BC: D3D70084 0E12CD2E
	v_mfma_i32_16x16x32_i8 v[136:139], a[48:49], v[96:97], 0   // 0000000051C4: D3D70088 0A02C130
	v_mfma_i32_16x16x32_i8 v[136:139], a[50:51], v[98:99], v[136:139]// 0000000051CC: D3D70088 0E22C532
	v_mfma_i32_16x16x32_i8 v[136:139], a[52:53], v[100:101], v[136:139]// 0000000051D4: D3D70088 0E22C934
	v_mfma_i32_16x16x32_i8 v[136:139], a[54:55], v[102:103], v[136:139]// 0000000051DC: D3D70088 0E22CD36
	v_mfma_i32_16x16x32_i8 v[140:143], a[56:57], v[96:97], 0   // 0000000051E4: D3D7008C 0A02C138
	v_mfma_i32_16x16x32_i8 v[140:143], a[58:59], v[98:99], v[140:143]// 0000000051EC: D3D7008C 0E32C53A
	v_mfma_i32_16x16x32_i8 v[140:143], a[60:61], v[100:101], v[140:143]// 0000000051F4: D3D7008C 0E32C93C
	v_mfma_i32_16x16x32_i8 v[140:143], a[62:63], v[102:103], v[140:143]// 0000000051FC: D3D7008C 0E32CD3E
	v_mov_b32_dpp v41, v53 row_shr:4 row_mask:0xf bank_mask:0xf// 000000005204: 7E5202FA FF011435
	v_mov_b32_dpp v42, v53 row_shl:4 row_mask:0xf bank_mask:0xf// 00000000520C: 7E5402FA FF010435
	v_cndmask_b32_e64 v248, v53, v41, s[44:45]                 // 000000005214: D10000F8 00B25335
	v_cndmask_b32_e64 v249, v42, v53, s[44:45]                 // 00000000521C: D10000F9 00B26B2A
	v_mov_b32_dpp v41, v73 row_shr:4 row_mask:0xf bank_mask:0xf// 000000005224: 7E5202FA FF011449
	v_mov_b32_dpp v42, v73 row_shl:4 row_mask:0xf bank_mask:0xf// 00000000522C: 7E5402FA FF010449
	v_cndmask_b32_e64 v252, v73, v41, s[44:45]                 // 000000005234: D10000FC 00B25349
	v_cndmask_b32_e64 v253, v42, v73, s[44:45]                 // 00000000523C: D10000FD 00B2932A
	v_or_b32_dpp v128, v136, v128 row_shr:8 row_mask:0xf bank_mask:0xf bound_ctrl:1// 000000005244: 290100FA FF091888
	v_or_b32_dpp v129, v137, v129 row_shr:8 row_mask:0xf bank_mask:0xf bound_ctrl:1// 00000000524C: 290302FA FF091889
	v_or_b32_dpp v130, v138, v130 row_shr:8 row_mask:0xf bank_mask:0xf bound_ctrl:1// 000000005254: 290504FA FF09188A
	v_or_b32_dpp v131, v139, v131 row_shr:8 row_mask:0xf bank_mask:0xf bound_ctrl:1// 00000000525C: 290706FA FF09188B
	v_or_b32_dpp v132, v140, v132 row_shr:8 row_mask:0xf bank_mask:0xf bound_ctrl:1// 000000005264: 290908FA FF09188C
	v_or_b32_dpp v133, v141, v133 row_shr:8 row_mask:0xf bank_mask:0xf bound_ctrl:1// 00000000526C: 290B0AFA FF09188D
	v_or_b32_dpp v134, v142, v134 row_shr:8 row_mask:0xf bank_mask:0xf bound_ctrl:1// 000000005274: 290D0CFA FF09188E
	v_or_b32_dpp v135, v143, v135 row_shr:8 row_mask:0xf bank_mask:0xf bound_ctrl:1// 00000000527C: 290F0EFA FF09188F
	v_cvt_f32_i32_e32 v128, v128                               // 000000005284: 7F000B80
	v_cvt_f32_i32_e32 v129, v129                               // 000000005288: 7F020B81
	v_cvt_f32_i32_e32 v130, v130                               // 00000000528C: 7F040B82
	v_cvt_f32_i32_e32 v131, v131                               // 000000005290: 7F060B83
	v_cvt_f32_i32_e32 v132, v132                               // 000000005294: 7F080B84
	v_cvt_f32_i32_e32 v133, v133                               // 000000005298: 7F0A0B85
	v_cvt_f32_i32_e32 v134, v134                               // 00000000529C: 7F0C0B86
	v_cvt_f32_i32_e32 v135, v135                               // 0000000052A0: 7F0E0B87
	v_mul_f32_e32 v128, v54, v128                              // 0000000052A4: 0B010136
	v_mul_f32_e32 v129, v54, v129                              // 0000000052A8: 0B030336
	v_mul_f32_e32 v130, v54, v130                              // 0000000052AC: 0B050536
	v_mul_f32_e32 v131, v54, v131                              // 0000000052B0: 0B070736
	v_mul_f32_e32 v132, v54, v132                              // 0000000052B4: 0B090936
	v_mul_f32_e32 v133, v54, v133                              // 0000000052B8: 0B0B0B36
	v_mul_f32_e32 v134, v54, v134                              // 0000000052BC: 0B0D0D36
	v_mul_f32_e32 v135, v54, v135                              // 0000000052C0: 0B0F0F36
	v_mul_f32_dpp v128, v248, v128 quad_perm:[0,0,0,0] row_mask:0xf bank_mask:0xf// 0000000052C4: 0B0100FA FF0000F8
	v_mul_f32_dpp v129, v248, v129 quad_perm:[1,1,1,1] row_mask:0xf bank_mask:0xf// 0000000052CC: 0B0302FA FF0055F8
	v_mul_f32_dpp v130, v248, v130 quad_perm:[2,2,2,2] row_mask:0xf bank_mask:0xf// 0000000052D4: 0B0504FA FF00AAF8
	v_mul_f32_dpp v131, v248, v131 quad_perm:[3,3,3,3] row_mask:0xf bank_mask:0xf// 0000000052DC: 0B0706FA FF00FFF8
	v_mul_f32_dpp v132, v249, v132 quad_perm:[0,0,0,0] row_mask:0xf bank_mask:0xf// 0000000052E4: 0B0908FA FF0000F9
	v_mul_f32_dpp v133, v249, v133 quad_perm:[1,1,1,1] row_mask:0xf bank_mask:0xf// 0000000052EC: 0B0B0AFA FF0055F9
	v_mul_f32_dpp v134, v249, v134 quad_perm:[2,2,2,2] row_mask:0xf bank_mask:0xf// 0000000052F4: 0B0D0CFA FF00AAF9
	v_mul_f32_dpp v135, v249, v135 quad_perm:[3,3,3,3] row_mask:0xf bank_mask:0xf// 0000000052FC: 0B0F0EFA FF00FFF9
	s_and_b32 s60, s72, 0xff                                   // 000000005304: 863CFF48 000000FF
	v_mov_b32_e32 v79, s60                                     // 00000000530C: 7E9E023C
	v_lshrrev_b32_e32 v240, 4, v0                              // 000000005310: 21E00084
	v_mul_i32_i24_e32 v240, 4, v240                            // 000000005314: 0DE1E084
	v_and_b32_e32 v41, 15, v0                                  // 000000005318: 2652008F
	v_lshrrev_b32_e32 v41, 3, v41                              // 00000000531C: 20525283
	v_mul_i32_i24_e32 v41, 0x80, v41                           // 000000005320: 0C5252FF 00000080
	v_add_u32_e32 v240, v41, v240                              // 000000005328: 69E1E129
	s_mul_i32 s60, s7, 16                                      // 00000000532C: 923C9007
	v_add_u32_e32 v240, s60, v240                              // 000000005330: 69E1E03C
	v_add_u32_e32 v241, 1, v240                                // 000000005334: 69E3E081
	v_add_u32_e32 v242, 2, v240                                // 000000005338: 69E5E082
	v_add_u32_e32 v243, 3, v240                                // 00000000533C: 69E7E083
	v_cmp_lt_u32_e64 s[40:41], v240, v79                       // 000000005340: D0C90028 00029FF0
	v_add_u32_e32 v240, 64, v240                               // 000000005348: 69E1E0C0
	s_nop 0                                                    // 00000000534C: BF800000
	v_cndmask_b32_e64 v128, v69, v128, s[40:41]                // 000000005350: D1000080 00A30145
	v_cmp_lt_u32_e64 s[40:41], v241, v79                       // 000000005358: D0C90028 00029FF1
	v_add_u32_e32 v241, 64, v241                               // 000000005360: 69E3E2C0
	s_nop 0                                                    // 000000005364: BF800000
	v_cndmask_b32_e64 v129, v69, v129, s[40:41]                // 000000005368: D1000081 00A30345
	v_cmp_lt_u32_e64 s[40:41], v242, v79                       // 000000005370: D0C90028 00029FF2
	v_add_u32_e32 v242, 64, v242                               // 000000005378: 69E5E4C0
	s_nop 0                                                    // 00000000537C: BF800000
	v_cndmask_b32_e64 v130, v69, v130, s[40:41]                // 000000005380: D1000082 00A30545
	v_cmp_lt_u32_e64 s[40:41], v243, v79                       // 000000005388: D0C90028 00029FF3
	v_add_u32_e32 v243, 64, v243                               // 000000005390: 69E7E6C0
	s_nop 0                                                    // 000000005394: BF800000
	v_cndmask_b32_e64 v131, v69, v131, s[40:41]                // 000000005398: D1000083 00A30745
	v_cmp_lt_u32_e64 s[40:41], v240, v79                       // 0000000053A0: D0C90028 00029FF0
	v_add_u32_e32 v240, 64, v240                               // 0000000053A8: 69E1E0C0
	s_nop 0                                                    // 0000000053AC: BF800000
	v_cndmask_b32_e64 v132, v69, v132, s[40:41]                // 0000000053B0: D1000084 00A30945
	v_cmp_lt_u32_e64 s[40:41], v241, v79                       // 0000000053B8: D0C90028 00029FF1
	v_add_u32_e32 v241, 64, v241                               // 0000000053C0: 69E3E2C0
	s_nop 0                                                    // 0000000053C4: BF800000
	v_cndmask_b32_e64 v133, v69, v133, s[40:41]                // 0000000053C8: D1000085 00A30B45
	v_cmp_lt_u32_e64 s[40:41], v242, v79                       // 0000000053D0: D0C90028 00029FF2
	v_add_u32_e32 v242, 64, v242                               // 0000000053D8: 69E5E4C0
	s_nop 0                                                    // 0000000053DC: BF800000
	v_cndmask_b32_e64 v134, v69, v134, s[40:41]                // 0000000053E0: D1000086 00A30D45
	v_cmp_lt_u32_e64 s[40:41], v243, v79                       // 0000000053E8: D0C90028 00029FF3
	v_add_u32_e32 v243, 64, v243                               // 0000000053F0: 69E7E6C0
	s_nop 0                                                    // 0000000053F4: BF800000
	v_cndmask_b32_e64 v135, v69, v135, s[40:41]                // 0000000053F8: D1000087 00A30F45
	v_mov_b32_e32 v62, v128                                    // 000000005400: 7E7C0380
	v_max3_f32 v62, v128, v129, v62                            // 000000005404: D1D3003E 04FB0380
	v_max3_f32 v62, v130, v131, v62                            // 00000000540C: D1D3003E 04FB0782
	v_max3_f32 v62, v132, v133, v62                            // 000000005414: D1D3003E 04FB0B84
	v_max3_f32 v62, v134, v135, v62                            // 00000000541C: D1D3003E 04FB0F86
	ds_write_b32 v11, v62 offset:16896                         // 000000005424: D81A4200 00003E0B
	v_mul_u32_u24_dpp v41, v19, v68 row_newbcast:1 row_mask:0xf bank_mask:0xf// 00000000542C: 105288FA FF015113
	v_mul_u32_u24_dpp v42, v19, v68 row_newbcast:5 row_mask:0xf bank_mask:0xf// 000000005434: 105488FA FF015513
	v_mul_u32_u24_dpp v43, v19, v68 row_newbcast:9 row_mask:0xf bank_mask:0xf// 00000000543C: 105688FA FF015913
	v_mul_u32_u24_dpp v44, v19, v68 row_newbcast:13 row_mask:0xf bank_mask:0xf// 000000005444: 105888FA FF015D13
	v_add_u32_e32 v33, v41, v7                                 // 00000000544C: 68420F29
	v_add_u32_e32 v34, v42, v7                                 // 000000005450: 68440F2A
	v_add_u32_e32 v35, v43, v7                                 // 000000005454: 68460F2B
	v_add_u32_e32 v36, v44, v7                                 // 000000005458: 68480F2C
	s_waitcnt lgkmcnt(0)                                       // 00000000545C: BF8CC07F
	s_barrier                                                  // 000000005460: BF8A0000
	ds_read_b32 v80, v10 offset:16896                          // 000000005464: D86C4200 5000000A
	ds_read_b32 v81, v10 offset:16960                          // 00000000546C: D86C4240 5100000A
	ds_read_b32 v82, v10 offset:17024                          // 000000005474: D86C4280 5200000A
	ds_read_b32 v83, v10 offset:17088                          // 00000000547C: D86C42C0 5300000A
	ds_read_b32 v84, v10 offset:17152                          // 000000005484: D86C4300 5400000A
	ds_read_b32 v85, v10 offset:17216                          // 00000000548C: D86C4340 5500000A
	ds_read_b32 v86, v10 offset:17280                          // 000000005494: D86C4380 5600000A
	ds_read_b32 v87, v10 offset:17344                          // 00000000549C: D86C43C0 5700000A
	ds_read_b32 v88, v10 offset:17408                          // 0000000054A4: D86C4400 5800000A
	ds_read_b32 v89, v10 offset:17472                          // 0000000054AC: D86C4440 5900000A
	ds_read_b32 v90, v10 offset:17536                          // 0000000054B4: D86C4480 5A00000A
	ds_read_b32 v91, v10 offset:17600                          // 0000000054BC: D86C44C0 5B00000A
	ds_read_b32 v92, v10 offset:17664                          // 0000000054C4: D86C4500 5C00000A
	ds_read_b32 v93, v10 offset:17728                          // 0000000054CC: D86C4540 5D00000A
	ds_read_b32 v94, v10 offset:17792                          // 0000000054D4: D86C4580 5E00000A
	ds_read_b32 v95, v10 offset:17856                          // 0000000054DC: D86C45C0 5F00000A
	v_mul_f32_e32 v224, v63, v224                              // 0000000054E4: 0BC1C13F
	v_mul_f32_e32 v225, v63, v225                              // 0000000054E8: 0BC3C33F
	v_mul_f32_e32 v226, v63, v226                              // 0000000054EC: 0BC5C53F
	v_mul_f32_e32 v227, v63, v227                              // 0000000054F0: 0BC7C73F
	v_or_b32_dpp v192, v196, v192 row_shr:8 row_mask:0xf bank_mask:0xf bound_ctrl:1// 0000000054F4: 298180FA FF0918C4
	v_or_b32_dpp v193, v197, v193 row_shr:8 row_mask:0xf bank_mask:0xf bound_ctrl:1// 0000000054FC: 298382FA FF0918C5
	v_or_b32_dpp v194, v198, v194 row_shr:8 row_mask:0xf bank_mask:0xf bound_ctrl:1// 000000005504: 298584FA FF0918C6
	v_or_b32_dpp v195, v199, v195 row_shr:8 row_mask:0xf bank_mask:0xf bound_ctrl:1// 00000000550C: 298786FA FF0918C7
	s_waitcnt lgkmcnt(0)                                       // 000000005514: BF8CC07F
	v_max3_f32 v62, v80, v81, v62                              // 000000005518: D1D3003E 04FAA350
	v_max3_f32 v62, v82, v83, v62                              // 000000005520: D1D3003E 04FAA752
	v_max3_f32 v62, v84, v85, v62                              // 000000005528: D1D3003E 04FAAB54
	v_max3_f32 v62, v86, v87, v62                              // 000000005530: D1D3003E 04FAAF56
	v_max3_f32 v62, v88, v89, v62                              // 000000005538: D1D3003E 04FAB358
	v_max3_f32 v62, v90, v91, v62                              // 000000005540: D1D3003E 04FAB75A
	v_max3_f32 v62, v92, v93, v62                              // 000000005548: D1D3003E 04FABB5C
	v_max3_f32 v62, v94, v95, v62                              // 000000005550: D1D3003E 04FABF5E
	v_cmp_eq_u32_e64 s[40:41], v69, v14                        // 000000005558: D0CA0028 00021D45
	s_nop 1                                                    // 000000005560: BF800001
	v_mov_b32_dpp v41, v62 row_ror:8 row_mask:0xf bank_mask:0xf// 000000005564: 7E5202FA FF01283E
	v_max_f32_e32 v62, v62, v41                                // 00000000556C: 167C533E
	v_max_f32_e32 v18, v62, v14                                // 000000005570: 16241D3E
	v_mul_f32_e32 v67, s64, v18                                // 000000005574: 0A862440
	v_fma_f32 v128, v128, s64, -v67                            // 000000005578: D1CB0080 850C8180
	v_fma_f32 v129, v129, s64, -v67                            // 000000005580: D1CB0081 850C8181
	v_fma_f32 v130, v130, s64, -v67                            // 000000005588: D1CB0082 850C8182
	v_fma_f32 v131, v131, s64, -v67                            // 000000005590: D1CB0083 850C8183
	v_fma_f32 v132, v132, s64, -v67                            // 000000005598: D1CB0084 850C8184
	v_fma_f32 v133, v133, s64, -v67                            // 0000000055A0: D1CB0085 850C8185
	v_fma_f32 v134, v134, s64, -v67                            // 0000000055A8: D1CB0086 850C8186
	v_fma_f32 v135, v135, s64, -v67                            // 0000000055B0: D1CB0087 850C8187
	v_exp_f32_e32 v128, v128                                   // 0000000055B8: 7F004180
	v_exp_f32_e32 v129, v129                                   // 0000000055BC: 7F024181
	v_exp_f32_e32 v130, v130                                   // 0000000055C0: 7F044182
	v_exp_f32_e32 v131, v131                                   // 0000000055C4: 7F064183
	v_exp_f32_e32 v132, v132                                   // 0000000055C8: 7F084184
	v_exp_f32_e32 v133, v133                                   // 0000000055CC: 7F0A4185
	v_exp_f32_e32 v134, v134                                   // 0000000055D0: 7F0C4186
	v_exp_f32_e32 v135, v135                                   // 0000000055D4: 7F0E4187
	v_mul_f32_dpp v240, v252, v128 quad_perm:[0,0,0,0] row_mask:0xf bank_mask:0xf// 0000000055D8: 0BE100FA FF0000FC
	v_mul_f32_dpp v241, v252, v129 quad_perm:[1,1,1,1] row_mask:0xf bank_mask:0xf// 0000000055E0: 0BE302FA FF0055FC
	v_mul_f32_dpp v242, v252, v130 quad_perm:[2,2,2,2] row_mask:0xf bank_mask:0xf// 0000000055E8: 0BE504FA FF00AAFC
	v_mul_f32_dpp v243, v252, v131 quad_perm:[3,3,3,3] row_mask:0xf bank_mask:0xf// 0000000055F0: 0BE706FA FF00FFFC
	v_mul_f32_dpp v244, v253, v132 quad_perm:[0,0,0,0] row_mask:0xf bank_mask:0xf// 0000000055F8: 0BE908FA FF0000FD
	v_mul_f32_dpp v245, v253, v133 quad_perm:[1,1,1,1] row_mask:0xf bank_mask:0xf// 000000005600: 0BEB0AFA FF0055FD
	v_mul_f32_dpp v246, v253, v134 quad_perm:[2,2,2,2] row_mask:0xf bank_mask:0xf// 000000005608: 0BED0CFA FF00AAFD
	v_mul_f32_dpp v247, v253, v135 quad_perm:[3,3,3,3] row_mask:0xf bank_mask:0xf// 000000005610: 0BEF0EFA FF00FFFD
	v_mov_b32_e32 v62, 0x358637bd                              // 000000005618: 7E7C02FF 358637BD
	v_max3_f32 v62, |v240|, |v241|, v62                        // 000000005620: D1D3033E 04FBE3F0
	v_max3_f32 v62, |v242|, |v243|, v62                        // 000000005628: D1D3033E 04FBE7F2
	v_max3_f32 v62, |v244|, |v245|, v62                        // 000000005630: D1D3033E 04FBEBF4
	v_max3_f32 v62, |v246|, |v247|, v62                        // 000000005638: D1D3033E 04FBEFF6
	ds_write_b32 v11, v62 offset:20992                         // 000000005640: D81A5200 00003E0B
	v_sub_f32_e32 v63, v14, v18                                // 000000005648: 047E250E
	v_cndmask_b32_e64 v63, v63, 0, s[40:41]                    // 00000000564C: D100003F 00A1013F
	v_mov_b32_e32 v14, v18                                     // 000000005654: 7E1C0312
	v_mul_f32_e32 v63, s64, v63                                // 000000005658: 0A7E7E40
	v_exp_f32_e32 v63, v63                                     // 00000000565C: 7E7E413F
	s_waitcnt lgkmcnt(0)                                       // 000000005660: BF8CC07F
	s_barrier                                                  // 000000005664: BF8A0000
	ds_read_b32 v80, v10 offset:20992                          // 000000005668: D86C5200 5000000A
	ds_read_b32 v81, v10 offset:21056                          // 000000005670: D86C5240 5100000A
	ds_read_b32 v82, v10 offset:21120                          // 000000005678: D86C5280 5200000A
	ds_read_b32 v83, v10 offset:21184                          // 000000005680: D86C52C0 5300000A
	ds_read_b32 v84, v10 offset:21248                          // 000000005688: D86C5300 5400000A
	ds_read_b32 v85, v10 offset:21312                          // 000000005690: D86C5340 5500000A
	ds_read_b32 v86, v10 offset:21376                          // 000000005698: D86C5380 5600000A
	ds_read_b32 v87, v10 offset:21440                          // 0000000056A0: D86C53C0 5700000A
	ds_read_b32 v88, v10 offset:21504                          // 0000000056A8: D86C5400 5800000A
	ds_read_b32 v89, v10 offset:21568                          // 0000000056B0: D86C5440 5900000A
	ds_read_b32 v90, v10 offset:21632                          // 0000000056B8: D86C5480 5A00000A
	ds_read_b32 v91, v10 offset:21696                          // 0000000056C0: D86C54C0 5B00000A
	ds_read_b32 v92, v10 offset:21760                          // 0000000056C8: D86C5500 5C00000A
	ds_read_b32 v93, v10 offset:21824                          // 0000000056D0: D86C5540 5D00000A
	ds_read_b32 v94, v10 offset:21888                          // 0000000056D8: D86C5580 5E00000A
	ds_read_b32 v95, v10 offset:21952                          // 0000000056E0: D86C55C0 5F00000A
	v_mul_f32_e32 v47, v63, v47                                // 0000000056E8: 0A5E5F3F
	v_mov_b32_e32 v51, v128                                    // 0000000056EC: 7E660380
	v_add_f32_e32 v51, v129, v51                               // 0000000056F0: 02666781
	v_add_f32_e32 v51, v130, v51                               // 0000000056F4: 02666782
	v_add_f32_e32 v51, v131, v51                               // 0000000056F8: 02666783
	v_add_f32_e32 v51, v132, v51                               // 0000000056FC: 02666784
	v_add_f32_e32 v51, v133, v51                               // 000000005700: 02666785
	v_add_f32_e32 v51, v134, v51                               // 000000005704: 02666786
	v_add_f32_e32 v51, v135, v51                               // 000000005708: 02666787
	v_add_f32_e32 v47, v51, v47                                // 00000000570C: 025E5F33
	s_waitcnt lgkmcnt(0)                                       // 000000005710: BF8CC07F
	v_max3_f32 v62, |v80|, |v81|, v62                          // 000000005714: D1D3033E 04FAA350
	v_max3_f32 v62, |v82|, |v83|, v62                          // 00000000571C: D1D3033E 04FAA752
	v_max3_f32 v62, |v84|, |v85|, v62                          // 000000005724: D1D3033E 04FAAB54
	v_max3_f32 v62, |v86|, |v87|, v62                          // 00000000572C: D1D3033E 04FAAF56
	v_max3_f32 v62, |v88|, |v89|, v62                          // 000000005734: D1D3033E 04FAB358
	v_max3_f32 v62, |v90|, |v91|, v62                          // 00000000573C: D1D3033E 04FAB75A
	v_max3_f32 v62, |v92|, |v93|, v62                          // 000000005744: D1D3033E 04FABB5C
	v_max3_f32 v62, |v94|, |v95|, v62                          // 00000000574C: D1D3033E 04FABF5E
	s_nop 2                                                    // 000000005754: BF800002
	v_mov_b32_dpp v41, v62 row_ror:8 row_mask:0xf bank_mask:0xf// 000000005758: 7E5202FA FF01283E
	v_max_f32_e32 v62, v62, v41                                // 000000005760: 167C533E
	v_rcp_f32_e32 v62, v62                                     // 000000005764: 7E7C453E
	s_nop 1                                                    // 000000005768: BF800001
	v_mul_f32_e32 v62, 0x42fe0000, v62                         // 00000000576C: 0A7C7CFF 42FE0000
	v_mul_f32_e32 v128, v62, v240                              // 000000005774: 0B01E13E
	v_mul_f32_e32 v129, v62, v241                              // 000000005778: 0B03E33E
	v_mul_f32_e32 v130, v62, v242                              // 00000000577C: 0B05E53E
	v_mul_f32_e32 v131, v62, v243                              // 000000005780: 0B07E73E
	v_mul_f32_e32 v132, v62, v244                              // 000000005784: 0B09E93E
	v_mul_f32_e32 v133, v62, v245                              // 000000005788: 0B0BEB3E
	v_mul_f32_e32 v134, v62, v246                              // 00000000578C: 0B0DED3E
	v_mul_f32_e32 v135, v62, v247                              // 000000005790: 0B0FEF3E
	v_cvt_i32_f32_e32 v128, v128                               // 000000005794: 7F001180
	v_cvt_i32_f32_e32 v129, v129                               // 000000005798: 7F021181
	v_cvt_i32_f32_e32 v130, v130                               // 00000000579C: 7F041182
	v_cvt_i32_f32_e32 v131, v131                               // 0000000057A0: 7F061183
	v_cvt_i32_f32_e32 v132, v132                               // 0000000057A4: 7F081184
	v_cvt_i32_f32_e32 v133, v133                               // 0000000057A8: 7F0A1185
	v_cvt_i32_f32_e32 v134, v134                               // 0000000057AC: 7F0C1186
	v_cvt_i32_f32_e32 v135, v135                               // 0000000057B0: 7F0E1187
	v_perm_b32 v128, v129, v128, s53                           // 0000000057B4: D1ED0080 00D70181
	v_perm_b32 v128, v130, v128, s54                           // 0000000057BC: D1ED0080 00DB0182
	v_perm_b32 v128, v131, v128, s55                           // 0000000057C4: D1ED0080 00DF0183
	v_perm_b32 v129, v133, v132, s53                           // 0000000057CC: D1ED0081 00D70985
	v_perm_b32 v129, v134, v129, s54                           // 0000000057D4: D1ED0081 00DB0386
	v_perm_b32 v129, v135, v129, s55                           // 0000000057DC: D1ED0081 00DF0387
	ds_write_b32 v13, v128 offset:25088                        // 0000000057E4: D81A6200 0000800D
	ds_write_b32 v13, v129 offset:26112                        // 0000000057EC: D81A6600 0000810D
	v_cvt_f32_i32_e32 v192, v192                               // 0000000057F4: 7F800BC0
	v_cvt_f32_i32_e32 v193, v193                               // 0000000057F8: 7F820BC1
	v_cvt_f32_i32_e32 v194, v194                               // 0000000057FC: 7F840BC2
	v_cvt_f32_i32_e32 v195, v195                               // 000000005800: 7F860BC3
	v_mul_f32_e32 v192, v58, v192                              // 000000005804: 0B81813A
	v_mul_f32_e32 v193, v58, v193                              // 000000005808: 0B83833A
	v_mul_f32_e32 v194, v58, v194                              // 00000000580C: 0B85853A
	v_mul_f32_e32 v195, v58, v195                              // 000000005810: 0B87873A
	v_rcp_f32_e32 v58, v62                                     // 000000005814: 7E74453E
	s_waitcnt lgkmcnt(0)                                       // 000000005818: BF8CC07F
	s_barrier                                                  // 00000000581C: BF8A0000
	ds_read_b64 v[128:129], v12 offset:25088                   // 000000005820: D8EC6200 8000000C
	ds_read_b64 v[130:131], v12 offset:25216                   // 000000005828: D8EC6280 8200000C
	ds_read_b64 v[132:133], v12 offset:26112                   // 000000005830: D8EC6600 8400000C
	ds_read_b64 v[134:135], v12 offset:26240                   // 000000005838: D8EC6680 8600000C
	v_add_f32_e32 v224, v224, v192                             // 000000005840: 03C181E0
	v_add_f32_e32 v225, v225, v193                             // 000000005844: 03C383E1
	v_add_f32_e32 v226, v226, v194                             // 000000005848: 03C585E2
	v_add_f32_e32 v227, v227, v195                             // 00000000584C: 03C787E3
	s_waitcnt lgkmcnt(3)                                       // 000000005850: BF8CC37F
	v_mov_b32_dpp v136, v128 row_shl:8 row_mask:0xf bank_mask:0xf bound_ctrl:1// 000000005854: 7F1002FA FF090880
	v_and_b32_e32 v128, v128, v9                               // 00000000585C: 27001380
	v_mov_b32_dpp v137, v129 row_shl:8 row_mask:0xf bank_mask:0xf bound_ctrl:1// 000000005860: 7F1202FA FF090881
	v_and_b32_e32 v129, v129, v9                               // 000000005868: 27021381
	s_waitcnt lgkmcnt(2)                                       // 00000000586C: BF8CC27F
	v_mov_b32_dpp v138, v130 row_shl:8 row_mask:0xf bank_mask:0xf bound_ctrl:1// 000000005870: 7F1402FA FF090882
	v_and_b32_e32 v130, v130, v9                               // 000000005878: 27041382
	v_mov_b32_dpp v139, v131 row_shl:8 row_mask:0xf bank_mask:0xf bound_ctrl:1// 00000000587C: 7F1602FA FF090883
	v_and_b32_e32 v131, v131, v9                               // 000000005884: 27061383
	s_waitcnt lgkmcnt(1)                                       // 000000005888: BF8CC17F
	v_mov_b32_dpp v140, v132 row_shl:8 row_mask:0xf bank_mask:0xf bound_ctrl:1// 00000000588C: 7F1802FA FF090884
	v_and_b32_e32 v132, v132, v9                               // 000000005894: 27081384
	v_mov_b32_dpp v141, v133 row_shl:8 row_mask:0xf bank_mask:0xf bound_ctrl:1// 000000005898: 7F1A02FA FF090885
	v_and_b32_e32 v133, v133, v9                               // 0000000058A0: 270A1385
	s_waitcnt lgkmcnt(0)                                       // 0000000058A4: BF8CC07F
	v_mov_b32_dpp v142, v134 row_shl:8 row_mask:0xf bank_mask:0xf bound_ctrl:1// 0000000058A8: 7F1C02FA FF090886
	v_and_b32_e32 v134, v134, v9                               // 0000000058B0: 270C1386
	v_mov_b32_dpp v143, v135 row_shl:8 row_mask:0xf bank_mask:0xf bound_ctrl:1// 0000000058B4: 7F1E02FA FF090887
	v_and_b32_e32 v135, v135, v9                               // 0000000058BC: 270E1387
	s_waitcnt vmcnt(0)                                         // 0000000058C0: BF8C0F70
	s_barrier                                                  // 0000000058C4: BF8A0000
	v_mfma_i32_16x16x32_i8 v[192:195], a[96:97], v[128:129], 0 // 0000000058C8: D3D700C0 0A030160
	v_mfma_i32_16x16x32_i8 v[192:195], a[98:99], v[130:131], v[192:195]// 0000000058D0: D3D700C0 0F030562
	v_mfma_i32_16x16x32_i8 v[192:195], a[100:101], v[132:133], v[192:195]// 0000000058D8: D3D700C0 0F030964
	v_mfma_i32_16x16x32_i8 v[192:195], a[102:103], v[134:135], v[192:195]// 0000000058E0: D3D700C0 0F030D66
	v_mfma_i32_16x16x32_i8 v[192:195], a[104:105], v[136:137], v[192:195]// 0000000058E8: D3D700C0 0F031168
	v_mfma_i32_16x16x32_i8 v[192:195], a[106:107], v[138:139], v[192:195]// 0000000058F0: D3D700C0 0F03156A
	v_mfma_i32_16x16x32_i8 v[192:195], a[108:109], v[140:141], v[192:195]// 0000000058F8: D3D700C0 0F03196C
	v_mfma_i32_16x16x32_i8 v[192:195], a[110:111], v[142:143], v[192:195]// 000000005900: D3D700C0 0F031D6E
	v_mfma_i32_16x16x32_i8 v[196:199], a[112:113], v[128:129], 0// 000000005908: D3D700C4 0A030170
	v_mfma_i32_16x16x32_i8 v[196:199], a[114:115], v[130:131], v[196:199]// 000000005910: D3D700C4 0F130572
	v_mfma_i32_16x16x32_i8 v[196:199], a[116:117], v[132:133], v[196:199]// 000000005918: D3D700C4 0F130974
	v_mfma_i32_16x16x32_i8 v[196:199], a[118:119], v[134:135], v[196:199]// 000000005920: D3D700C4 0F130D76
	v_mfma_i32_16x16x32_i8 v[196:199], a[120:121], v[136:137], v[196:199]// 000000005928: D3D700C4 0F131178
	v_mfma_i32_16x16x32_i8 v[196:199], a[122:123], v[138:139], v[196:199]// 000000005930: D3D700C4 0F13157A
	v_mfma_i32_16x16x32_i8 v[196:199], a[124:125], v[140:141], v[196:199]// 000000005938: D3D700C4 0F13197C
	v_mfma_i32_16x16x32_i8 v[196:199], a[126:127], v[142:143], v[196:199]// 000000005940: D3D700C4 0F131D7E
	s_nop 4                                                    // 000000005948: BF800004
	s_branch label_0DD4                                        // 00000000594C: BF820000

0000000000005950 <label_0DD4>:
	v_mul_f32_e32 v224, v63, v224                              // 000000005950: 0BC1C13F
	v_mul_f32_e32 v225, v63, v225                              // 000000005954: 0BC3C33F
	v_mul_f32_e32 v226, v63, v226                              // 000000005958: 0BC5C53F
	v_mul_f32_e32 v227, v63, v227                              // 00000000595C: 0BC7C73F
	v_or_b32_dpp v192, v196, v192 row_shr:8 row_mask:0xf bank_mask:0xf bound_ctrl:1// 000000005960: 298180FA FF0918C4
	v_or_b32_dpp v193, v197, v193 row_shr:8 row_mask:0xf bank_mask:0xf bound_ctrl:1// 000000005968: 298382FA FF0918C5
	v_or_b32_dpp v194, v198, v194 row_shr:8 row_mask:0xf bank_mask:0xf bound_ctrl:1// 000000005970: 298584FA FF0918C6
	v_or_b32_dpp v195, v199, v195 row_shr:8 row_mask:0xf bank_mask:0xf bound_ctrl:1// 000000005978: 298786FA FF0918C7
	v_cvt_f32_i32_e32 v192, v192                               // 000000005980: 7F800BC0
	v_cvt_f32_i32_e32 v193, v193                               // 000000005984: 7F820BC1
	v_cvt_f32_i32_e32 v194, v194                               // 000000005988: 7F840BC2
	v_cvt_f32_i32_e32 v195, v195                               // 00000000598C: 7F860BC3
	v_mul_f32_e32 v192, v58, v192                              // 000000005990: 0B81813A
	v_mul_f32_e32 v193, v58, v193                              // 000000005994: 0B83833A
	v_mul_f32_e32 v194, v58, v194                              // 000000005998: 0B85853A
	v_mul_f32_e32 v195, v58, v195                              // 00000000599C: 0B87873A
	v_add_f32_e32 v224, v224, v192                             // 0000000059A0: 03C181E0
	v_add_f32_e32 v225, v225, v193                             // 0000000059A4: 03C383E1
	v_add_f32_e32 v226, v226, v194                             // 0000000059A8: 03C585E2
	v_add_f32_e32 v227, v227, v195                             // 0000000059AC: 03C787E3
	ds_write_b32 v11, v47 offset:16896                         // 0000000059B0: D81A4200 00002F0B
	s_waitcnt lgkmcnt(0)                                       // 0000000059B8: BF8CC07F
	s_barrier                                                  // 0000000059BC: BF8A0000
	ds_read_b32 v80, v10 offset:16896                          // 0000000059C0: D86C4200 5000000A
	ds_read_b32 v81, v10 offset:16960                          // 0000000059C8: D86C4240 5100000A
	ds_read_b32 v82, v10 offset:17024                          // 0000000059D0: D86C4280 5200000A
	ds_read_b32 v83, v10 offset:17088                          // 0000000059D8: D86C42C0 5300000A
	ds_read_b32 v84, v10 offset:17152                          // 0000000059E0: D86C4300 5400000A
	ds_read_b32 v85, v10 offset:17216                          // 0000000059E8: D86C4340 5500000A
	ds_read_b32 v86, v10 offset:17280                          // 0000000059F0: D86C4380 5600000A
	ds_read_b32 v87, v10 offset:17344                          // 0000000059F8: D86C43C0 5700000A
	ds_read_b32 v88, v10 offset:17408                          // 000000005A00: D86C4400 5800000A
	ds_read_b32 v89, v10 offset:17472                          // 000000005A08: D86C4440 5900000A
	ds_read_b32 v90, v10 offset:17536                          // 000000005A10: D86C4480 5A00000A
	ds_read_b32 v91, v10 offset:17600                          // 000000005A18: D86C44C0 5B00000A
	ds_read_b32 v92, v10 offset:17664                          // 000000005A20: D86C4500 5C00000A
	ds_read_b32 v93, v10 offset:17728                          // 000000005A28: D86C4540 5D00000A
	ds_read_b32 v94, v10 offset:17792                          // 000000005A30: D86C4580 5E00000A
	ds_read_b32 v95, v10 offset:17856                          // 000000005A38: D86C45C0 5F00000A
	s_waitcnt lgkmcnt(0)                                       // 000000005A40: BF8CC07F
	v_mov_b32_e32 v47, 0                                       // 000000005A44: 7E5E0280
	v_add_f32_e32 v47, v80, v47                                // 000000005A48: 025E5F50
	v_add_f32_e32 v47, v81, v47                                // 000000005A4C: 025E5F51
	v_add_f32_e32 v47, v82, v47                                // 000000005A50: 025E5F52
	v_add_f32_e32 v47, v83, v47                                // 000000005A54: 025E5F53
	v_add_f32_e32 v47, v84, v47                                // 000000005A58: 025E5F54
	v_add_f32_e32 v47, v85, v47                                // 000000005A5C: 025E5F55
	v_add_f32_e32 v47, v86, v47                                // 000000005A60: 025E5F56
	v_add_f32_e32 v47, v87, v47                                // 000000005A64: 025E5F57
	v_add_f32_e32 v47, v88, v47                                // 000000005A68: 025E5F58
	v_add_f32_e32 v47, v89, v47                                // 000000005A6C: 025E5F59
	v_add_f32_e32 v47, v90, v47                                // 000000005A70: 025E5F5A
	v_add_f32_e32 v47, v91, v47                                // 000000005A74: 025E5F5B
	v_add_f32_e32 v47, v92, v47                                // 000000005A78: 025E5F5C
	v_add_f32_e32 v47, v93, v47                                // 000000005A7C: 025E5F5D
	v_add_f32_e32 v47, v94, v47                                // 000000005A80: 025E5F5E
	v_add_f32_e32 v47, v95, v47                                // 000000005A84: 025E5F5F
	s_nop 1                                                    // 000000005A88: BF800001
	v_mov_b32_dpp v41, v47 row_ror:8 row_mask:0xf bank_mask:0xf// 000000005A8C: 7E5202FA FF01282F
	v_add_f32_e32 v47, v47, v41                                // 000000005A94: 025E532F
	v_rcp_f32_e32 v47, v47                                     // 000000005A98: 7E5E452F
	s_nop 1                                                    // 000000005A9C: BF800001
	v_mul_f32_e32 v224, v47, v224                              // 000000005AA0: 0BC1C12F
	v_mul_f32_e32 v225, v47, v225                              // 000000005AA4: 0BC3C32F
	v_mul_f32_e32 v226, v47, v226                              // 000000005AA8: 0BC5C52F
	v_mul_f32_e32 v227, v47, v227                              // 000000005AAC: 0BC7C72F
	v_cmp_u_f32_e64 s[40:41], v224, v224                       // 000000005AB0: D0480028 0003C1E0
	v_add3_u32 v21, v224, v24, 1                               // 000000005AB8: D1FF0015 020631E0
	v_cndmask_b32_e64 v41, v21, v23, s[40:41]                  // 000000005AC0: D1000029 00A22F15
	v_cmp_u_f32_e64 s[40:41], v225, v225                       // 000000005AC8: D0480028 0003C3E1
	v_add3_u32 v21, v225, v24, 1                               // 000000005AD0: D1FF0015 020631E1
	v_cndmask_b32_e64 v42, v21, v23, s[40:41]                  // 000000005AD8: D100002A 00A22F15
	v_perm_b32 v224, v42, v41, s52                             // 000000005AE0: D1ED00E0 00D2532A
	v_cmp_u_f32_e64 s[40:41], v226, v226                       // 000000005AE8: D0480028 0003C5E2
	v_add3_u32 v21, v226, v24, 1                               // 000000005AF0: D1FF0015 020631E2
	v_cndmask_b32_e64 v41, v21, v23, s[40:41]                  // 000000005AF8: D1000029 00A22F15
	v_cmp_u_f32_e64 s[40:41], v227, v227                       // 000000005B00: D0480028 0003C7E3
	v_add3_u32 v21, v227, v24, 1                               // 000000005B08: D1FF0015 020631E3
	v_cndmask_b32_e64 v42, v21, v23, s[40:41]                  // 000000005B10: D100002A 00A22F15
	v_perm_b32 v225, v42, v41, s52                             // 000000005B18: D1ED00E1 00D2532A
	s_nop 1                                                    // 000000005B20: BF800001
	v_mov_b32_dpp v226, v224 row_shl:8 row_mask:0xf bank_mask:0xf bound_ctrl:1// 000000005B24: 7FC402FA FF0908E0
	v_and_b32_e32 v224, v224, v9                               // 000000005B2C: 27C013E0
	v_mov_b32_dpp v227, v225 row_shl:8 row_mask:0xf bank_mask:0xf bound_ctrl:1// 000000005B30: 7FC602FA FF0908E1
	v_and_b32_e32 v225, v225, v9                               // 000000005B38: 27C213E1
	v_lshrrev_b32_e32 v41, 4, v0                               // 000000005B3C: 20520084
	v_mul_i32_i24_e32 v5, 34, v41                              // 000000005B40: 0C0A52A2
	v_and_b32_e32 v41, 15, v0                                  // 000000005B44: 2652008F
	v_mul_i32_i24_e32 v42, 2, v41                              // 000000005B48: 0C545282
	v_add_u32_e32 v5, v42, v5                                  // 000000005B4C: 680A0B2A
	s_mul_i32 s60, s7, 0x88                                    // 000000005B50: 923CFF07 00000088
	v_add_u32_e32 v5, s60, v5                                  // 000000005B58: 680A0A3C
	v_lshlrev_b32_e32 v5, 2, v5                                // 000000005B5C: 240A0A82
	ds_write_b64 v5, v[224:225] offset:41472                   // 000000005B60: D89AA200 0000E005
	ds_write_b64 v5, v[226:227] offset:43648                   // 000000005B68: D89AAA80 0000E205
	v_lshrrev_b32_e32 v41, 1, v0                               // 000000005B70: 20520081
	v_mul_i32_i24_e32 v5, 34, v41                              // 000000005B74: 0C0A52A2
	v_and_b32_e32 v42, 1, v0                                   // 000000005B78: 26540081
	v_add_u32_e32 v5, v42, v5                                  // 000000005B7C: 680A0B2A
	s_mul_i32 s60, s7, 2                                       // 000000005B80: 923C8207
	v_add_u32_e32 v5, s60, v5                                  // 000000005B84: 680A0A3C
	v_lshlrev_b32_e32 v5, 2, v5                                // 000000005B88: 240A0A82
	s_waitcnt lgkmcnt(0)                                       // 000000005B8C: BF8CC07F
	s_barrier                                                  // 000000005B90: BF8A0000
	ds_read_b32 v224, v5 offset:41472                          // 000000005B94: D86CA200 E0000005
	ds_read_b32 v225, v5 offset:41504                          // 000000005B9C: D86CA220 E1000005
	s_waitcnt lgkmcnt(0)                                       // 000000005BA4: BF8CC07F
	buffer_store_dword v224, v8, s[8:11], 0 offen              // 000000005BA8: E0701000 8002E008
	buffer_store_dword v225, v8, s[8:11], 0 offen offset:1024  // 000000005BB0: E0701400 8002E108
	s_mul_i32 s60, 0x100, s77                                  // 000000005BB8: 923C4DFF 00000100
	s_add_u32 s8, s60, s8                                      // 000000005BC0: 8008083C
	s_addc_u32 s9, 0, s9                                       // 000000005BC4: 82090980
	s_branch label_4AC6                                        // 000000005BC8: BF823C53

0000000000005bcc <label_0E73>:
	s_mul_i32 s60, s3, s65                                     // 000000005BCC: 923C4103
	s_mul_i32 s60, s60, 4                                      // 000000005BD0: 923C843C
	s_add_u32 s24, s60, s24                                    // 000000005BD4: 8018183C
	s_addc_u32 s25, 0, s25                                     // 000000005BD8: 82191980
	s_mov_b32 s56, 64                                          // 000000005BDC: BEB800C0
	s_add_u32 s73, s72, 15                                     // 000000005BE0: 80498F48
	s_lshr_b32 s73, s73, 4                                     // 000000005BE4: 8F498449
	s_mul_i32 s60, s73, 4                                      // 000000005BE8: 923C8449
	s_mov_b32 s26, s60                                         // 000000005BEC: BE9A003C
	s_sub_u32 s89, s72, s86                                    // 000000005BF0: 80D95648
	s_mov_b32 s90, 0xff                                        // 000000005BF4: BEDA00FF 000000FF
	s_mov_b32 s91, 0x100                                       // 000000005BFC: BEDB00FF 00000100
	v_and_b32_e32 v42, 3, v0                                   // 000000005C04: 26540083
	v_cmp_eq_u32_e64 s[60:61], 0, v42                          // 000000005C08: D0CA003C 00025480
	v_and_b32_e32 v41, 12, v0                                  // 000000005C10: 2652008C
	v_add_u32_e32 v1, s7, v41                                  // 000000005C14: 68025207
	v_cndmask_b32_e64 v1, 0, v1, s[60:61]                      // 000000005C18: D1000001 00F20280
	v_and_b32_e32 v42, 3, v0                                   // 000000005C20: 26540083
	v_cmp_eq_u32_e64 s[60:61], 1, v42                          // 000000005C24: D0CA003C 00025481
	v_lshrrev_b32_e32 v41, 4, v0                               // 000000005C2C: 20520084
	v_and_b32_e32 v42, 12, v0                                  // 000000005C30: 2654008C
	v_add_u32_e32 v41, v42, v41                                // 000000005C34: 6852532A
	v_cndmask_b32_e64 v41, 0, v41, s[60:61]                    // 000000005C38: D1000029 00F25280
	v_add_u32_e32 v1, v1, v41                                  // 000000005C40: 68025301
	v_lshlrev_b32_e32 v1, 2, v1                                // 000000005C44: 24020282
	buffer_load_dword v19, v1, s[24:27], 0 offen               // 000000005C48: E0501000 80061301
	v_add_u32_e32 v1, s56, v1                                  // 000000005C50: 68020238
	buffer_load_dword v20, v1, s[24:27], 0 offen               // 000000005C54: E0501000 80061401
	s_cmp_le_u32 s73, 32                                       // 000000005C5C: BF0BA049
	s_cselect_b32 s56, 0, s56                                  // 000000005C60: 85383880
	s_mul_i32 s60, s2, s67                                     // 000000005C64: 923C4302
	s_mul_i32 s61, s84, s74                                    // 000000005C68: 923D4A54
	s_add_u32 s60, s60, s61                                    // 000000005C6C: 803C3D3C
	s_add_u32 s12, s60, s12                                    // 000000005C70: 800C0C3C
	s_addc_u32 s13, 0, s13                                     // 000000005C74: 820D0D80
	s_mul_i32 s60, s7, 0x108                                   // 000000005C78: 923CFF07 00000108
	s_add_u32 m0, 0, s60                                       // 000000005C80: 807C3C80
	s_mul_i32 s60, s7, 0x100                                   // 000000005C84: 923CFF07 00000100
	v_lshlrev_b32_e32 v41, 2, v0                               // 000000005C8C: 24520082
	v_add_u32_e64 v41, v41, s60                                // 000000005C90: D1340029 00007929
	v_add_u32_e32 v42, 0x400, v41                              // 000000005C98: 685452FF 00000400
	buffer_load_dword v41, s[12:15], 0 offen lds               // 000000005CA0: E0511000 80030029
	s_mul_i32 s60, 4, 0x108                                    // 000000005CA8: 923CFF84 00000108
	s_add_u32 m0, m0, s60                                      // 000000005CB0: 807C3C7C
	buffer_load_dword v42, s[12:15], 0 offen lds               // 000000005CB4: E0511000 8003002A
	s_mul_i32 s60, 4, 0x108                                    // 000000005CBC: 923CFF84 00000108
	s_add_u32 m0, m0, s60                                      // 000000005CC4: 807C3C7C
	s_add_u32 s12, s74, s12                                    // 000000005CC8: 800C0C4A
	s_addc_u32 s13, 0, s13                                     // 000000005CCC: 820D0D80
	buffer_load_dword v41, s[12:15], 0 offen lds               // 000000005CD0: E0511000 80030029
	s_mul_i32 s60, 4, 0x108                                    // 000000005CD8: 923CFF84 00000108
	s_add_u32 m0, m0, s60                                      // 000000005CE0: 807C3C7C
	buffer_load_dword v42, s[12:15], 0 offen lds               // 000000005CE4: E0511000 8003002A
	s_mul_i32 s60, 4, 0x108                                    // 000000005CEC: 923CFF84 00000108
	s_add_u32 m0, m0, s60                                      // 000000005CF4: 807C3C7C
	v_lshrrev_b32_e32 v41, 4, v0                               // 000000005CF8: 20520084
	v_lshlrev_b32_e32 v41, 2, v41                              // 000000005CFC: 24525282
	v_and_b32_e32 v42, 3, v0                                   // 000000005D00: 26540083
	v_add_u32_e32 v41, v42, v41                                // 000000005D04: 6852532A
	v_lshlrev_b32_e32 v74, 2, v41                              // 000000005D08: 24945282
	v_mov_b32_e32 v75, v74                                     // 000000005D0C: 7E96034A
	s_mul_i32 s60, s2, 64                                      // 000000005D10: 923CC002
	s_add_u32 s32, s60, s32                                    // 000000005D14: 8020203C
	s_addc_u32 s33, 0, s33                                     // 000000005D18: 82212180
	s_add_u32 s36, s60, s36                                    // 000000005D1C: 8024243C
	s_addc_u32 s37, 0, s37                                     // 000000005D20: 82252580
	s_mul_i32 s60, s2, s76                                     // 000000005D24: 923C4C02
	s_mul_i32 s61, s84, s75                                    // 000000005D28: 923D4B54
	s_add_u32 s60, s60, s61                                    // 000000005D2C: 803C3D3C
	s_add_u32 s8, s60, s8                                      // 000000005D30: 8008083C
	s_addc_u32 s9, 0, s9                                       // 000000005D34: 82090980
	s_mov_b32 s70, 0                                           // 000000005D38: BEC60080
	s_and_b32 s71, s72, 0xffffff00                             // 000000005D3C: 8647FF48 FFFFFF00
	s_mov_b32 s42, 0xff00ff00                                  // 000000005D44: BEAA00FF FF00FF00
	s_mov_b32 s43, 0xff00ff00                                  // 000000005D4C: BEAB00FF FF00FF00
	s_mov_b32 s44, 0xf0f0f0f0                                  // 000000005D54: BEAC00FF F0F0F0F0
	s_mov_b32 s45, 0xf0f0f0f0                                  // 000000005D5C: BEAD00FF F0F0F0F0
	s_mov_b32 s78, 0xff00ff                                    // 000000005D64: BECE00FF 00FF00FF
	s_mov_b32 s79, 0xff00ff                                    // 000000005D6C: BECF00FF 00FF00FF
	v_mul_i32_i24_e64 v78, 64, s66                             // 000000005D74: D106004E 000084C0
	v_mov_b32_e32 v68, s68                                     // 000000005D7C: 7E880244
	s_mov_b32 s52, 0x7060302                                   // 000000005D80: BEB400FF 07060302
	s_mov_b32 s53, 0x400                                       // 000000005D88: BEB500FF 00000400
	s_mov_b32 s54, 0x40100                                     // 000000005D90: BEB600FF 00040100
	s_mov_b32 s55, 0x4020100                                   // 000000005D98: BEB700FF 04020100
	s_mov_b32 s6, 0x3fb8aa3b                                   // 000000005DA0: BE8600FF 3FB8AA3B
	v_mov_b32_e32 v14, 0xff800000                              // 000000005DA8: 7E1C02FF FF800000
	v_mov_b32_e32 v63, 0                                       // 000000005DB0: 7E7E0280
	v_mov_b32_e32 v47, 0                                       // 000000005DB4: 7E5E0280
	v_mov_b32_e32 v58, 0                                       // 000000005DB8: 7E740280
	v_mov_b32_e32 v22, 0xffff0000                              // 000000005DBC: 7E2C02FF FFFF0000
	v_mov_b32_e32 v23, 0x7fff0000                              // 000000005DC4: 7E2E02FF 7FFF0000
	v_mov_b32_e32 v24, 0x7fff                                  // 000000005DCC: 7E3002FF 00007FFF
	v_add_u32_e32 v1, s56, v1                                  // 000000005DD4: 68020238
	v_and_b32_e32 v10, 15, v0                                  // 000000005DD8: 2614008F
	v_lshlrev_b32_e32 v10, 2, v10                              // 000000005DDC: 24141482
	v_lshlrev_b32_e32 v11, 2, v0                               // 000000005DE0: 24160082
	s_mul_i32 s60, 0x100, s7                                   // 000000005DE4: 923C07FF 00000100
	v_add_u32_e32 v11, s60, v11                                // 000000005DEC: 6816163C
	v_lshrrev_b32_e32 v41, 4, v0                               // 000000005DF0: 20520084
	v_lshlrev_b32_e32 v42, 6, v41                              // 000000005DF4: 24545286
	v_and_b32_e32 v41, 15, v0                                  // 000000005DF8: 2652008F
	v_lshlrev_b32_e32 v41, 1, v41                              // 000000005DFC: 24525281
	v_add_u32_e32 v42, v41, v42                                // 000000005E00: 68545529
	v_lshlrev_b32_e32 v12, 2, v42                              // 000000005E04: 24185482
	v_lshrrev_b32_e32 v41, 5, v0                               // 000000005E08: 20520085
	v_lshlrev_b32_e32 v42, 5, v41                              // 000000005E0C: 24545285
	v_and_b32_e32 v41, 31, v0                                  // 000000005E10: 2652009F
	v_lshrrev_b32_e32 v43, 4, v41                              // 000000005E14: 20565284
	v_add_u32_e32 v42, v43, v42                                // 000000005E18: 6854552B
	v_and_b32_e32 v41, 15, v0                                  // 000000005E1C: 2652008F
	v_lshlrev_b32_e32 v41, 1, v41                              // 000000005E20: 24525281
	v_add_u32_e32 v42, v41, v42                                // 000000005E24: 68545529
	v_lshlrev_b32_e32 v41, 2, v42                              // 000000005E28: 24525482
	s_mul_i32 s60, 0x100, s7                                   // 000000005E2C: 923C07FF 00000100
	v_add_u32_e64 v13, v41, s60                                // 000000005E34: D134000D 00007929
	v_lshlrev_b32_e32 v6, 4, v0                                // 000000005E3C: 240C0084
	s_mul_i32 s60, s2, s69                                     // 000000005E40: 923C4502
	s_add_u32 s16, s60, s16                                    // 000000005E44: 8010103C
	s_addc_u32 s17, 0, s17                                     // 000000005E48: 82111180
	v_and_b32_e32 v41, 15, v0                                  // 000000005E4C: 2652008F
	v_lshlrev_b32_e32 v7, 4, v41                               // 000000005E50: 240E5284
	s_mul_i32 s61, s2, s69                                     // 000000005E54: 923D4502
	s_mul_i32 s60, s7, 0x100                                   // 000000005E58: 923CFF07 00000100
	s_add_u32 s60, s60, s61                                    // 000000005E60: 803C3D3C
	s_add_u32 s20, s60, s20                                    // 000000005E64: 8014143C
	s_addc_u32 s21, 0, s21                                     // 000000005E68: 82151580
	s_waitcnt vmcnt(4)                                         // 000000005E6C: BF8C0F74
	v_mul_u32_u24_dpp v41, v19, v68 row_newbcast:0 row_mask:0xf bank_mask:0xf// 000000005E70: 105288FA FF015013
	v_mul_u32_u24_dpp v42, v19, v68 row_newbcast:4 row_mask:0xf bank_mask:0xf// 000000005E78: 105488FA FF015413
	v_mul_u32_u24_dpp v43, v19, v68 row_newbcast:8 row_mask:0xf bank_mask:0xf// 000000005E80: 105688FA FF015813
	v_mul_u32_u24_dpp v44, v19, v68 row_newbcast:12 row_mask:0xf bank_mask:0xf// 000000005E88: 105888FA FF015C13
	v_add_u32_e32 v25, v41, v6                                 // 000000005E90: 68320D29
	v_add_u32_e32 v26, v42, v6                                 // 000000005E94: 68340D2A
	v_add_u32_e32 v27, v43, v6                                 // 000000005E98: 68360D2B
	v_add_u32_e32 v28, v44, v6                                 // 000000005E9C: 68380D2C
	v_mul_u32_u24_dpp v41, v19, v68 row_newbcast:1 row_mask:0xf bank_mask:0xf// 000000005EA0: 105288FA FF015113
	v_mul_u32_u24_dpp v42, v19, v68 row_newbcast:5 row_mask:0xf bank_mask:0xf// 000000005EA8: 105488FA FF015513
	v_mul_u32_u24_dpp v43, v19, v68 row_newbcast:9 row_mask:0xf bank_mask:0xf// 000000005EB0: 105688FA FF015913
	v_mul_u32_u24_dpp v44, v19, v68 row_newbcast:13 row_mask:0xf bank_mask:0xf// 000000005EB8: 105888FA FF015D13
	v_add_u32_e32 v33, v41, v7                                 // 000000005EC0: 68420F29
	v_add_u32_e32 v34, v42, v7                                 // 000000005EC4: 68440F2A
	v_add_u32_e32 v35, v43, v7                                 // 000000005EC8: 68460F2B
	v_add_u32_e32 v36, v44, v7                                 // 000000005ECC: 68480F2C
	v_mul_u32_u24_dpp v41, v19, v78 quad_perm:[0,0,0,0] row_mask:0xf bank_mask:0xf// 000000005ED0: 10529CFA FF000013
	v_add_u32_e32 v2, v41, v74                                 // 000000005ED8: 68049529
	v_mul_u32_u24_dpp v41, v19, v78 quad_perm:[0,0,0,0] row_mask:0xf bank_mask:0xf// 000000005EDC: 10529CFA FF000013
	v_add_u32_e32 v70, v41, v75                                // 000000005EE4: 688C9729
	buffer_load_dword v52, v2, s[32:35], 0 offen               // 000000005EE8: E0501000 80083402
	buffer_load_dwordx4 a[0:3], v25, s[16:19], 0 offen         // 000000005EF0: E05C1000 80840019
	buffer_load_dwordx4 a[4:7], v25, s[16:19], 0 offen offset:1024// 000000005EF8: E05C1400 80840419
	buffer_load_dwordx4 a[8:11], v26, s[16:19], 0 offen        // 000000005F00: E05C1000 8084081A
	buffer_load_dwordx4 a[12:15], v26, s[16:19], 0 offen offset:1024// 000000005F08: E05C1400 80840C1A
	buffer_load_dwordx4 a[16:19], v27, s[16:19], 0 offen       // 000000005F10: E05C1000 8084101B
	buffer_load_dwordx4 a[20:23], v27, s[16:19], 0 offen offset:1024// 000000005F18: E05C1400 8084141B
	buffer_load_dwordx4 a[24:27], v28, s[16:19], 0 offen       // 000000005F20: E05C1000 8084181C
	buffer_load_dwordx4 a[28:31], v28, s[16:19], 0 offen offset:1024// 000000005F28: E05C1400 80841C1C
	buffer_load_dword v72, v70, s[36:39], 0 offen              // 000000005F30: E0501000 80094846
	buffer_load_dwordx4 a[64:67], v33, s[20:23], 0 offen       // 000000005F38: E05C1000 80854021
	buffer_load_dwordx4 a[68:71], v34, s[20:23], 0 offen       // 000000005F40: E05C1000 80854422
	buffer_load_dwordx4 a[72:75], v35, s[20:23], 0 offen       // 000000005F48: E05C1000 80854823
	buffer_load_dwordx4 a[76:79], v36, s[20:23], 0 offen       // 000000005F50: E05C1000 80854C24
	buffer_load_dwordx4 a[80:83], v33, s[20:23], 0 offen offset:1024// 000000005F58: E05C1400 80855021
	buffer_load_dwordx4 a[84:87], v34, s[20:23], 0 offen offset:1024// 000000005F60: E05C1400 80855422
	buffer_load_dwordx4 a[88:91], v35, s[20:23], 0 offen offset:1024// 000000005F68: E05C1400 80855823
	buffer_load_dwordx4 a[92:95], v36, s[20:23], 0 offen offset:1024// 000000005F70: E05C1400 80855C24
	v_lshrrev_b32_e32 v41, 4, v0                               // 000000005F78: 20520084
	v_lshlrev_b32_e32 v42, 1, v41                              // 000000005F7C: 24545281
	v_and_b32_e32 v41, 15, v0                                  // 000000005F80: 2652008F
	v_mul_i32_i24_e32 v41, 0x42, v41                           // 000000005F84: 0C5252FF 00000042
	v_add_u32_e32 v42, v41, v42                                // 000000005F8C: 68545529
	v_lshlrev_b32_e32 v4, 2, v42                               // 000000005F90: 24085482
	s_mul_i32 s60, s7, 32                                      // 000000005F94: 923CA007
	v_add_u32_e32 v4, s60, v4                                  // 000000005F98: 6808083C
	s_waitcnt vmcnt(16) lgkmcnt(0)                             // 000000005F9C: BF8C4070
	s_barrier                                                  // 000000005FA0: BF8A0000
	ds_read_b64 v[96:97], v4                                   // 000000005FA4: D8EC0000 60000004
	ds_read_b64 v[100:101], v4 offset:128                      // 000000005FAC: D8EC0080 64000004
	s_waitcnt lgkmcnt(0)                                       // 000000005FB4: BF8CC07F
	v_and_b32_e32 v99, 0xffff0000, v97                         // 000000005FB8: 26C6C2FF FFFF0000
	v_lshlrev_b32_e32 v98, 16, v97                             // 000000005FC0: 24C4C290
	v_and_b32_e32 v97, 0xffff0000, v96                         // 000000005FC4: 26C2C0FF FFFF0000
	v_lshlrev_b32_e32 v96, 16, v96                             // 000000005FCC: 24C0C090
	v_and_b32_e32 v103, 0xffff0000, v101                       // 000000005FD0: 26CECAFF FFFF0000
	v_lshlrev_b32_e32 v102, 16, v101                           // 000000005FD8: 24CCCA90
	v_and_b32_e32 v101, 0xffff0000, v100                       // 000000005FDC: 26CAC8FF FFFF0000
	v_lshlrev_b32_e32 v100, 16, v100                           // 000000005FE4: 24C8C890
	v_mov_b32_e32 v62, 0x358637bd                              // 000000005FE8: 7E7C02FF 358637BD
	v_max3_f32 v62, |v96|, |v97|, v62                          // 000000005FF0: D1D3033E 04FAC360
	v_max3_f32 v62, |v98|, |v99|, v62                          // 000000005FF8: D1D3033E 04FAC762
	v_max3_f32 v62, |v100|, |v101|, v62                        // 000000006000: D1D3033E 04FACB64
	v_max3_f32 v62, |v102|, |v103|, v62                        // 000000006008: D1D3033E 04FACF66
	ds_write_b32 v11, v62 offset:16896                         // 000000006010: D81A4200 00003E0B
	s_waitcnt lgkmcnt(0)                                       // 000000006018: BF8CC07F
	s_barrier                                                  // 00000000601C: BF8A0000
	ds_read_b32 v80, v10 offset:16896                          // 000000006020: D86C4200 5000000A
	ds_read_b32 v81, v10 offset:16960                          // 000000006028: D86C4240 5100000A
	ds_read_b32 v82, v10 offset:17024                          // 000000006030: D86C4280 5200000A
	ds_read_b32 v83, v10 offset:17088                          // 000000006038: D86C42C0 5300000A
	ds_read_b32 v84, v10 offset:17152                          // 000000006040: D86C4300 5400000A
	ds_read_b32 v85, v10 offset:17216                          // 000000006048: D86C4340 5500000A
	ds_read_b32 v86, v10 offset:17280                          // 000000006050: D86C4380 5600000A
	ds_read_b32 v87, v10 offset:17344                          // 000000006058: D86C43C0 5700000A
	ds_read_b32 v88, v10 offset:17408                          // 000000006060: D86C4400 5800000A
	ds_read_b32 v89, v10 offset:17472                          // 000000006068: D86C4440 5900000A
	ds_read_b32 v90, v10 offset:17536                          // 000000006070: D86C4480 5A00000A
	ds_read_b32 v91, v10 offset:17600                          // 000000006078: D86C44C0 5B00000A
	ds_read_b32 v92, v10 offset:17664                          // 000000006080: D86C4500 5C00000A
	ds_read_b32 v93, v10 offset:17728                          // 000000006088: D86C4540 5D00000A
	ds_read_b32 v94, v10 offset:17792                          // 000000006090: D86C4580 5E00000A
	ds_read_b32 v95, v10 offset:17856                          // 000000006098: D86C45C0 5F00000A
	s_waitcnt lgkmcnt(0)                                       // 0000000060A0: BF8CC07F
	v_max3_f32 v62, |v80|, |v81|, v62                          // 0000000060A4: D1D3033E 04FAA350
	v_max3_f32 v62, |v82|, |v83|, v62                          // 0000000060AC: D1D3033E 04FAA752
	v_max3_f32 v62, |v84|, |v85|, v62                          // 0000000060B4: D1D3033E 04FAAB54
	v_max3_f32 v62, |v86|, |v87|, v62                          // 0000000060BC: D1D3033E 04FAAF56
	v_max3_f32 v62, |v88|, |v89|, v62                          // 0000000060C4: D1D3033E 04FAB358
	v_max3_f32 v62, |v90|, |v91|, v62                          // 0000000060CC: D1D3033E 04FAB75A
	v_max3_f32 v62, |v92|, |v93|, v62                          // 0000000060D4: D1D3033E 04FABB5C
	v_max3_f32 v62, |v94|, |v95|, v62                          // 0000000060DC: D1D3033E 04FABF5E
	v_rcp_f32_e32 v62, v62                                     // 0000000060E4: 7E7C453E
	s_nop 1                                                    // 0000000060E8: BF800001
	v_mul_f32_e32 v62, 0x42fe0000, v62                         // 0000000060EC: 0A7C7CFF 42FE0000
	v_mul_f32_e32 v96, v62, v96                                // 0000000060F4: 0AC0C13E
	v_mul_f32_e32 v97, v62, v97                                // 0000000060F8: 0AC2C33E
	v_mul_f32_e32 v98, v62, v98                                // 0000000060FC: 0AC4C53E
	v_mul_f32_e32 v99, v62, v99                                // 000000006100: 0AC6C73E
	v_mul_f32_e32 v100, v62, v100                              // 000000006104: 0AC8C93E
	v_mul_f32_e32 v101, v62, v101                              // 000000006108: 0ACACB3E
	v_mul_f32_e32 v102, v62, v102                              // 00000000610C: 0ACCCD3E
	v_mul_f32_e32 v103, v62, v103                              // 000000006110: 0ACECF3E
	v_cvt_i32_f32_e32 v96, v96                                 // 000000006114: 7EC01160
	v_cvt_i32_f32_e32 v97, v97                                 // 000000006118: 7EC21161
	v_cvt_i32_f32_e32 v98, v98                                 // 00000000611C: 7EC41162
	v_cvt_i32_f32_e32 v99, v99                                 // 000000006120: 7EC61163
	v_cvt_i32_f32_e32 v100, v100                               // 000000006124: 7EC81164
	v_cvt_i32_f32_e32 v101, v101                               // 000000006128: 7ECA1165
	v_cvt_i32_f32_e32 v102, v102                               // 00000000612C: 7ECC1166
	v_cvt_i32_f32_e32 v103, v103                               // 000000006130: 7ECE1167
	v_rcp_f32_e32 v54, v62                                     // 000000006134: 7E6C453E
	v_perm_b32 v96, v97, v96, s53                              // 000000006138: D1ED0060 00D6C161
	v_perm_b32 v96, v98, v96, s54                              // 000000006140: D1ED0060 00DAC162
	v_perm_b32 v96, v99, v96, s55                              // 000000006148: D1ED0060 00DEC163
	v_perm_b32 v97, v101, v100, s53                            // 000000006150: D1ED0061 00D6C965
	v_perm_b32 v97, v102, v97, s54                             // 000000006158: D1ED0061 00DAC366
	v_perm_b32 v97, v103, v97, s55                             // 000000006160: D1ED0061 00DEC367
	ds_write_b32 v13, v96 offset:25088                         // 000000006168: D81A6200 0000600D
	ds_write_b32 v13, v97 offset:26112                         // 000000006170: D81A6600 0000610D
	s_waitcnt lgkmcnt(0)                                       // 000000006178: BF8CC07F
	s_barrier                                                  // 00000000617C: BF8A0000
	ds_read_b64 v[96:97], v12 offset:25088                     // 000000006180: D8EC6200 6000000C
	ds_read_b64 v[98:99], v12 offset:25216                     // 000000006188: D8EC6280 6200000C
	ds_read_b64 v[100:101], v12 offset:26112                   // 000000006190: D8EC6600 6400000C
	ds_read_b64 v[102:103], v12 offset:26240                   // 000000006198: D8EC6680 6600000C
	v_mov_b32_e32 v224, 0                                      // 0000000061A0: 7FC00280
	v_mov_b32_e32 v225, 0                                      // 0000000061A4: 7FC20280
	v_mov_b32_e32 v226, 0                                      // 0000000061A8: 7FC40280
	v_mov_b32_e32 v227, 0                                      // 0000000061AC: 7FC60280
	v_mov_b32_e32 v228, 0                                      // 0000000061B0: 7FC80280
	v_mov_b32_e32 v229, 0                                      // 0000000061B4: 7FCA0280
	v_mov_b32_e32 v230, 0                                      // 0000000061B8: 7FCC0280
	v_mov_b32_e32 v231, 0                                      // 0000000061BC: 7FCE0280
	v_mov_b32_e32 v192, 0                                      // 0000000061C0: 7F800280
	v_mov_b32_e32 v193, 0                                      // 0000000061C4: 7F820280
	v_mov_b32_e32 v194, 0                                      // 0000000061C8: 7F840280
	v_mov_b32_e32 v195, 0                                      // 0000000061CC: 7F860280
	v_mov_b32_e32 v196, 0                                      // 0000000061D0: 7F880280
	v_mov_b32_e32 v197, 0                                      // 0000000061D4: 7F8A0280
	v_mov_b32_e32 v198, 0                                      // 0000000061D8: 7F8C0280
	v_mov_b32_e32 v199, 0                                      // 0000000061DC: 7F8E0280
	s_waitcnt vmcnt(8) lgkmcnt(0)                              // 0000000061E0: BF8C0078
	s_barrier                                                  // 0000000061E4: BF8A0000
	s_cmp_lt_u32 s73, 16                                       // 0000000061E8: BF0A9049
	s_cbranch_scc1 label_1BD3                                  // 0000000061EC: BF850BD7
	s_cmp_lt_i32 s7, 2                                         // 0000000061F0: BF048207
	s_cbranch_scc0 label_15EA                                  // 0000000061F4: BF8405EC

00000000000061f8 <label_0FFE>:
	s_waitcnt vmcnt(8) lgkmcnt(0)                              // 0000000061F8: BF8C0078
	v_mul_u32_u24_dpp v41, v20, v68 row_newbcast:0 row_mask:0xf bank_mask:0xf// 0000000061FC: 105288FA FF015014
	v_mul_u32_u24_dpp v42, v20, v68 row_newbcast:4 row_mask:0xf bank_mask:0xf// 000000006204: 105488FA FF015414
	v_mul_u32_u24_dpp v43, v20, v68 row_newbcast:8 row_mask:0xf bank_mask:0xf// 00000000620C: 105688FA FF015814
	v_mul_u32_u24_dpp v44, v20, v68 row_newbcast:12 row_mask:0xf bank_mask:0xf// 000000006214: 105888FA FF015C14
	v_add_u32_e32 v29, v41, v6                                 // 00000000621C: 683A0D29
	v_add_u32_e32 v30, v42, v6                                 // 000000006220: 683C0D2A
	v_add_u32_e32 v31, v43, v6                                 // 000000006224: 683E0D2B
	v_add_u32_e32 v32, v44, v6                                 // 000000006228: 68400D2C
	v_mul_u32_u24_dpp v41, v20, v78 quad_perm:[0,0,0,0] row_mask:0xf bank_mask:0xf// 00000000622C: 10529CFA FF000014
	v_add_u32_e32 v3, v41, v74                                 // 000000006234: 68069529
	v_mul_u32_u24_dpp v41, v20, v78 quad_perm:[0,0,0,0] row_mask:0xf bank_mask:0xf// 000000006238: 10529CFA FF000014
	v_add_u32_e32 v71, v41, v75                                // 000000006240: 688E9729
	v_mfma_i32_16x16x32_i8 v[128:131], a[0:1], v[96:97], 0     // 000000006244: D3D70080 0A02C100
	v_mfma_i32_16x16x32_i8 v[128:131], a[2:3], v[98:99], v[128:131]// 00000000624C: D3D70080 0E02C502
	buffer_load_dwordx4 a[32:35], v29, s[16:19], 0 offen       // 000000006254: E05C1000 8084201D
	v_mfma_i32_16x16x32_i8 v[128:131], a[4:5], v[100:101], v[128:131]// 00000000625C: D3D70080 0E02C904
	v_mfma_i32_16x16x32_i8 v[128:131], a[6:7], v[102:103], v[128:131]// 000000006264: D3D70080 0E02CD06
	buffer_load_dword v19, v1, s[24:27], 0 offen               // 00000000626C: E0501000 80061301
	v_mfma_i32_16x16x32_i8 v[132:135], a[8:9], v[96:97], 0     // 000000006274: D3D70084 0A02C108
	v_mfma_i32_16x16x32_i8 v[132:135], a[10:11], v[98:99], v[132:135]// 00000000627C: D3D70084 0E12C50A
	buffer_load_dwordx4 a[36:39], v29, s[16:19], 0 offen offset:1024// 000000006284: E05C1400 8084241D
	v_mfma_i32_16x16x32_i8 v[132:135], a[12:13], v[100:101], v[132:135]// 00000000628C: D3D70084 0E12C90C
	v_mfma_i32_16x16x32_i8 v[132:135], a[14:15], v[102:103], v[132:135]// 000000006294: D3D70084 0E12CD0E
	v_mfma_i32_16x16x32_i8 v[136:139], a[16:17], v[96:97], 0   // 00000000629C: D3D70088 0A02C110
	v_mfma_i32_16x16x32_i8 v[136:139], a[18:19], v[98:99], v[136:139]// 0000000062A4: D3D70088 0E22C512
	buffer_load_dwordx4 a[40:43], v30, s[16:19], 0 offen       // 0000000062AC: E05C1000 8084281E
	v_mfma_i32_16x16x32_i8 v[136:139], a[20:21], v[100:101], v[136:139]// 0000000062B4: D3D70088 0E22C914
	v_mfma_i32_16x16x32_i8 v[136:139], a[22:23], v[102:103], v[136:139]// 0000000062BC: D3D70088 0E22CD16
	v_mfma_i32_16x16x32_i8 v[140:143], a[24:25], v[96:97], 0   // 0000000062C4: D3D7008C 0A02C118
	v_mfma_i32_16x16x32_i8 v[140:143], a[26:27], v[98:99], v[140:143]// 0000000062CC: D3D7008C 0E32C51A
	buffer_load_dwordx4 a[44:47], v30, s[16:19], 0 offen offset:1024// 0000000062D4: E05C1400 80842C1E
	v_mfma_i32_16x16x32_i8 v[140:143], a[28:29], v[100:101], v[140:143]// 0000000062DC: D3D7008C 0E32C91C
	v_mfma_i32_16x16x32_i8 v[140:143], a[30:31], v[102:103], v[140:143]// 0000000062E4: D3D7008C 0E32CD1E
	buffer_load_dword v53, v3, s[32:35], 0 offen               // 0000000062EC: E0501000 80083503
	v_mov_b32_dpp v41, v52 row_shr:4 row_mask:0xf bank_mask:0xf// 0000000062F4: 7E5202FA FF011434
	v_mov_b32_dpp v42, v52 row_shl:4 row_mask:0xf bank_mask:0xf// 0000000062FC: 7E5402FA FF010434
	v_cndmask_b32_e64 v248, v52, v41, s[44:45]                 // 000000006304: D10000F8 00B25334
	v_cndmask_b32_e64 v249, v42, v52, s[44:45]                 // 00000000630C: D10000F9 00B2692A
	v_mov_b32_dpp v41, v248 row_shr:8 row_mask:0xf bank_mask:0xf// 000000006314: 7E5202FA FF0118F8
	v_mov_b32_dpp v42, v248 row_shl:8 row_mask:0xf bank_mask:0xf// 00000000631C: 7E5402FA FF0108F8
	v_mov_b32_dpp v43, v249 row_shr:8 row_mask:0xf bank_mask:0xf// 000000006324: 7E5602FA FF0118F9
	v_mov_b32_dpp v44, v249 row_shl:8 row_mask:0xf bank_mask:0xf// 00000000632C: 7E5802FA FF0108F9
	v_mov_b32_e32 v45, v248                                    // 000000006334: 7E5A03F8
	v_mov_b32_e32 v46, v249                                    // 000000006338: 7E5C03F9
	v_cndmask_b32_e64 v248, v45, v41, s[42:43]                 // 00000000633C: D10000F8 00AA532D
	v_cndmask_b32_e64 v250, v45, v42, s[78:79]                 // 000000006344: D10000FA 013A552D
	v_cndmask_b32_e64 v249, v46, v43, s[42:43]                 // 00000000634C: D10000F9 00AA572E
	v_cndmask_b32_e64 v251, v46, v44, s[78:79]                 // 000000006354: D10000FB 013A592E
	v_mov_b32_dpp v41, v72 row_shr:4 row_mask:0xf bank_mask:0xf// 00000000635C: 7E5202FA FF011448
	v_mov_b32_dpp v42, v72 row_shl:4 row_mask:0xf bank_mask:0xf// 000000006364: 7E5402FA FF010448
	v_cndmask_b32_e64 v252, v72, v41, s[44:45]                 // 00000000636C: D10000FC 00B25348
	v_cndmask_b32_e64 v253, v42, v72, s[44:45]                 // 000000006374: D10000FD 00B2912A
	v_mov_b32_dpp v41, v252 row_shr:8 row_mask:0xf bank_mask:0xf// 00000000637C: 7E5202FA FF0118FC
	v_mov_b32_dpp v42, v252 row_shl:8 row_mask:0xf bank_mask:0xf// 000000006384: 7E5402FA FF0108FC
	v_mov_b32_dpp v43, v253 row_shr:8 row_mask:0xf bank_mask:0xf// 00000000638C: 7E5602FA FF0118FD
	v_mov_b32_dpp v44, v253 row_shl:8 row_mask:0xf bank_mask:0xf// 000000006394: 7E5802FA FF0108FD
	v_mov_b32_e32 v45, v252                                    // 00000000639C: 7E5A03FC
	v_mov_b32_e32 v46, v253                                    // 0000000063A0: 7E5C03FD
	v_cndmask_b32_e64 v252, v45, v41, s[42:43]                 // 0000000063A4: D10000FC 00AA532D
	v_cndmask_b32_e64 v254, v45, v42, s[78:79]                 // 0000000063AC: D10000FE 013A552D
	v_cndmask_b32_e64 v253, v46, v43, s[42:43]                 // 0000000063B4: D10000FD 00AA572E
	v_cndmask_b32_e64 v255, v46, v44, s[78:79]                 // 0000000063BC: D10000FF 013A592E
	buffer_load_dword v73, v71, s[36:39], 0 offen              // 0000000063C4: E0501000 80094947
	v_cvt_f32_i32_e32 v128, v128                               // 0000000063CC: 7F000B80
	v_cvt_f32_i32_e32 v129, v129                               // 0000000063D0: 7F020B81
	v_cvt_f32_i32_e32 v130, v130                               // 0000000063D4: 7F040B82
	v_cvt_f32_i32_e32 v131, v131                               // 0000000063D8: 7F060B83
	v_cvt_f32_i32_e32 v132, v132                               // 0000000063DC: 7F080B84
	v_cvt_f32_i32_e32 v133, v133                               // 0000000063E0: 7F0A0B85
	v_cvt_f32_i32_e32 v134, v134                               // 0000000063E4: 7F0C0B86
	v_cvt_f32_i32_e32 v135, v135                               // 0000000063E8: 7F0E0B87
	v_cvt_f32_i32_e32 v136, v136                               // 0000000063EC: 7F100B88
	v_cvt_f32_i32_e32 v137, v137                               // 0000000063F0: 7F120B89
	v_cvt_f32_i32_e32 v138, v138                               // 0000000063F4: 7F140B8A
	v_cvt_f32_i32_e32 v139, v139                               // 0000000063F8: 7F160B8B
	v_cvt_f32_i32_e32 v140, v140                               // 0000000063FC: 7F180B8C
	v_cvt_f32_i32_e32 v141, v141                               // 000000006400: 7F1A0B8D
	v_cvt_f32_i32_e32 v142, v142                               // 000000006404: 7F1C0B8E
	v_cvt_f32_i32_e32 v143, v143                               // 000000006408: 7F1E0B8F
	v_mul_f32_e32 v128, v54, v128                              // 00000000640C: 0B010136
	v_mul_f32_e32 v129, v54, v129                              // 000000006410: 0B030336
	v_mul_f32_e32 v130, v54, v130                              // 000000006414: 0B050536
	v_mul_f32_e32 v131, v54, v131                              // 000000006418: 0B070736
	v_mul_f32_e32 v132, v54, v132                              // 00000000641C: 0B090936
	v_mul_f32_e32 v133, v54, v133                              // 000000006420: 0B0B0B36
	v_mul_f32_e32 v134, v54, v134                              // 000000006424: 0B0D0D36
	v_mul_f32_e32 v135, v54, v135                              // 000000006428: 0B0F0F36
	v_mul_f32_e32 v136, v54, v136                              // 00000000642C: 0B111136
	v_mul_f32_e32 v137, v54, v137                              // 000000006430: 0B131336
	v_mul_f32_e32 v138, v54, v138                              // 000000006434: 0B151536
	v_mul_f32_e32 v139, v54, v139                              // 000000006438: 0B171736
	v_mul_f32_e32 v140, v54, v140                              // 00000000643C: 0B191936
	v_mul_f32_e32 v141, v54, v141                              // 000000006440: 0B1B1B36
	v_mul_f32_e32 v142, v54, v142                              // 000000006444: 0B1D1D36
	v_mul_f32_e32 v143, v54, v143                              // 000000006448: 0B1F1F36
	buffer_load_dwordx4 a[48:51], v31, s[16:19], 0 offen       // 00000000644C: E05C1000 8084301F
	v_mul_f32_dpp v128, v248, v128 quad_perm:[0,0,0,0] row_mask:0xf bank_mask:0xf// 000000006454: 0B0100FA FF0000F8
	v_mul_f32_dpp v129, v248, v129 quad_perm:[1,1,1,1] row_mask:0xf bank_mask:0xf// 00000000645C: 0B0302FA FF0055F8
	v_mul_f32_dpp v130, v248, v130 quad_perm:[2,2,2,2] row_mask:0xf bank_mask:0xf// 000000006464: 0B0504FA FF00AAF8
	v_mul_f32_dpp v131, v248, v131 quad_perm:[3,3,3,3] row_mask:0xf bank_mask:0xf// 00000000646C: 0B0706FA FF00FFF8
	v_mul_f32_dpp v132, v249, v132 quad_perm:[0,0,0,0] row_mask:0xf bank_mask:0xf// 000000006474: 0B0908FA FF0000F9
	v_mul_f32_dpp v133, v249, v133 quad_perm:[1,1,1,1] row_mask:0xf bank_mask:0xf// 00000000647C: 0B0B0AFA FF0055F9
	v_mul_f32_dpp v134, v249, v134 quad_perm:[2,2,2,2] row_mask:0xf bank_mask:0xf// 000000006484: 0B0D0CFA FF00AAF9
	v_mul_f32_dpp v135, v249, v135 quad_perm:[3,3,3,3] row_mask:0xf bank_mask:0xf// 00000000648C: 0B0F0EFA FF00FFF9
	v_mul_f32_dpp v136, v250, v136 quad_perm:[0,0,0,0] row_mask:0xf bank_mask:0xf// 000000006494: 0B1110FA FF0000FA
	v_mul_f32_dpp v137, v250, v137 quad_perm:[1,1,1,1] row_mask:0xf bank_mask:0xf// 00000000649C: 0B1312FA FF0055FA
	v_mul_f32_dpp v138, v250, v138 quad_perm:[2,2,2,2] row_mask:0xf bank_mask:0xf// 0000000064A4: 0B1514FA FF00AAFA
	v_mul_f32_dpp v139, v250, v139 quad_perm:[3,3,3,3] row_mask:0xf bank_mask:0xf// 0000000064AC: 0B1716FA FF00FFFA
	v_mul_f32_dpp v140, v251, v140 quad_perm:[0,0,0,0] row_mask:0xf bank_mask:0xf// 0000000064B4: 0B1918FA FF0000FB
	v_mul_f32_dpp v141, v251, v141 quad_perm:[1,1,1,1] row_mask:0xf bank_mask:0xf// 0000000064BC: 0B1B1AFA FF0055FB
	v_mul_f32_dpp v142, v251, v142 quad_perm:[2,2,2,2] row_mask:0xf bank_mask:0xf// 0000000064C4: 0B1D1CFA FF00AAFB
	v_mul_f32_dpp v143, v251, v143 quad_perm:[3,3,3,3] row_mask:0xf bank_mask:0xf// 0000000064CC: 0B1F1EFA FF00FFFB
	buffer_load_dwordx4 a[52:55], v31, s[16:19], 0 offen offset:1024// 0000000064D4: E05C1400 8084341F
	s_cmp_le_i32 s90, s89                                      // 0000000064DC: BF05595A
	s_cbranch_scc1 label_112C                                  // 0000000064E0: BF850073
	v_mov_b32_e32 v69, 0xff800000                              // 0000000064E4: 7E8A02FF FF800000
	s_mov_b32 s60, s90                                         // 0000000064EC: BEBC005A
	s_add_u32 s61, s89, 0xff                                   // 0000000064F0: 803DFF59 000000FF
	v_mov_b32_e32 v41, s61                                     // 0000000064F8: 7E52023D
	v_lshrrev_b32_e32 v240, 4, v0                              // 0000000064FC: 21E00084
	v_mul_i32_i24_e32 v240, 4, v240                            // 000000006500: 0DE1E084
	v_add_u32_e32 v240, s60, v240                              // 000000006504: 69E1E03C
	v_and_b32_e32 v42, 15, v0                                  // 000000006508: 2654008F
	v_lshrrev_b32_e32 v42, 3, v42                              // 00000000650C: 20545483
	s_mov_b32 s61, 0                                           // 000000006510: BEBD0080
	s_mul_i32 s60, 16, s7                                      // 000000006514: 923C0790
	v_add_u32_e32 v42, s61, v42                                // 000000006518: 6854543D
	v_sub_u32_e32 v240, v240, v42                              // 00000000651C: 6BE055F0
	v_add_u32_e32 v240, s60, v240                              // 000000006520: 69E1E03C
	v_add_u32_e32 v241, 1, v240                                // 000000006524: 69E3E081
	v_add_u32_e32 v242, 2, v240                                // 000000006528: 69E5E082
	v_add_u32_e32 v243, 3, v240                                // 00000000652C: 69E7E083
	v_cmp_le_u32_e64 s[40:41], v240, v41                       // 000000006530: D0CB0028 000253F0
	v_add_u32_e32 v240, 64, v240                               // 000000006538: 69E1E0C0
	s_nop 0                                                    // 00000000653C: BF800000
	v_cndmask_b32_e64 v128, v69, v128, s[40:41]                // 000000006540: D1000080 00A30145
	v_cmp_le_u32_e64 s[40:41], v241, v41                       // 000000006548: D0CB0028 000253F1
	v_add_u32_e32 v241, 64, v241                               // 000000006550: 69E3E2C0
	s_nop 0                                                    // 000000006554: BF800000
	v_cndmask_b32_e64 v129, v69, v129, s[40:41]                // 000000006558: D1000081 00A30345
	v_cmp_le_u32_e64 s[40:41], v242, v41                       // 000000006560: D0CB0028 000253F2
	v_add_u32_e32 v242, 64, v242                               // 000000006568: 69E5E4C0
	s_nop 0                                                    // 00000000656C: BF800000
	v_cndmask_b32_e64 v130, v69, v130, s[40:41]                // 000000006570: D1000082 00A30545
	v_cmp_le_u32_e64 s[40:41], v243, v41                       // 000000006578: D0CB0028 000253F3
	v_add_u32_e32 v243, 64, v243                               // 000000006580: 69E7E6C0
	s_nop 0                                                    // 000000006584: BF800000
	v_cndmask_b32_e64 v131, v69, v131, s[40:41]                // 000000006588: D1000083 00A30745
	v_cmp_le_u32_e64 s[40:41], v240, v41                       // 000000006590: D0CB0028 000253F0
	v_add_u32_e32 v240, 64, v240                               // 000000006598: 69E1E0C0
	s_nop 0                                                    // 00000000659C: BF800000
	v_cndmask_b32_e64 v132, v69, v132, s[40:41]                // 0000000065A0: D1000084 00A30945
	v_cmp_le_u32_e64 s[40:41], v241, v41                       // 0000000065A8: D0CB0028 000253F1
	v_add_u32_e32 v241, 64, v241                               // 0000000065B0: 69E3E2C0
	s_nop 0                                                    // 0000000065B4: BF800000
	v_cndmask_b32_e64 v133, v69, v133, s[40:41]                // 0000000065B8: D1000085 00A30B45
	v_cmp_le_u32_e64 s[40:41], v242, v41                       // 0000000065C0: D0CB0028 000253F2
	v_add_u32_e32 v242, 64, v242                               // 0000000065C8: 69E5E4C0
	s_nop 0                                                    // 0000000065CC: BF800000
	v_cndmask_b32_e64 v134, v69, v134, s[40:41]                // 0000000065D0: D1000086 00A30D45
	v_cmp_le_u32_e64 s[40:41], v243, v41                       // 0000000065D8: D0CB0028 000253F3
	v_add_u32_e32 v243, 64, v243                               // 0000000065E0: 69E7E6C0
	s_nop 0                                                    // 0000000065E4: BF800000
	v_cndmask_b32_e64 v135, v69, v135, s[40:41]                // 0000000065E8: D1000087 00A30F45
	v_cmp_le_u32_e64 s[40:41], v240, v41                       // 0000000065F0: D0CB0028 000253F0
	v_add_u32_e32 v240, 64, v240                               // 0000000065F8: 69E1E0C0
	s_nop 0                                                    // 0000000065FC: BF800000
	v_cndmask_b32_e64 v136, v69, v136, s[40:41]                // 000000006600: D1000088 00A31145
	v_cmp_le_u32_e64 s[40:41], v241, v41                       // 000000006608: D0CB0028 000253F1
	v_add_u32_e32 v241, 64, v241                               // 000000006610: 69E3E2C0
	s_nop 0                                                    // 000000006614: BF800000
	v_cndmask_b32_e64 v137, v69, v137, s[40:41]                // 000000006618: D1000089 00A31345
	v_cmp_le_u32_e64 s[40:41], v242, v41                       // 000000006620: D0CB0028 000253F2
	v_add_u32_e32 v242, 64, v242                               // 000000006628: 69E5E4C0
	s_nop 0                                                    // 00000000662C: BF800000
	v_cndmask_b32_e64 v138, v69, v138, s[40:41]                // 000000006630: D100008A 00A31545
	v_cmp_le_u32_e64 s[40:41], v243, v41                       // 000000006638: D0CB0028 000253F3
	v_add_u32_e32 v243, 64, v243                               // 000000006640: 69E7E6C0
	s_nop 0                                                    // 000000006644: BF800000
	v_cndmask_b32_e64 v139, v69, v139, s[40:41]                // 000000006648: D100008B 00A31745
	v_cmp_le_u32_e64 s[40:41], v240, v41                       // 000000006650: D0CB0028 000253F0
	v_add_u32_e32 v240, 64, v240                               // 000000006658: 69E1E0C0
	s_nop 0                                                    // 00000000665C: BF800000
	v_cndmask_b32_e64 v140, v69, v140, s[40:41]                // 000000006660: D100008C 00A31945
	v_cmp_le_u32_e64 s[40:41], v241, v41                       // 000000006668: D0CB0028 000253F1
	v_add_u32_e32 v241, 64, v241                               // 000000006670: 69E3E2C0
	s_nop 0                                                    // 000000006674: BF800000
	v_cndmask_b32_e64 v141, v69, v141, s[40:41]                // 000000006678: D100008D 00A31B45
	v_cmp_le_u32_e64 s[40:41], v242, v41                       // 000000006680: D0CB0028 000253F2
	v_add_u32_e32 v242, 64, v242                               // 000000006688: 69E5E4C0
	s_nop 0                                                    // 00000000668C: BF800000
	v_cndmask_b32_e64 v142, v69, v142, s[40:41]                // 000000006690: D100008E 00A31D45
	v_cmp_le_u32_e64 s[40:41], v243, v41                       // 000000006698: D0CB0028 000253F3
	v_add_u32_e32 v243, 64, v243                               // 0000000066A0: 69E7E6C0
	s_nop 0                                                    // 0000000066A4: BF800000
	v_cndmask_b32_e64 v143, v69, v143, s[40:41]                // 0000000066A8: D100008F 00A31F45

00000000000066b0 <label_112C>:
	s_add_u32 s90, s91, s90                                    // 0000000066B0: 805A5A5B
	v_mov_b32_e32 v62, v128                                    // 0000000066B4: 7E7C0380
	v_max3_f32 v62, v128, v129, v62                            // 0000000066B8: D1D3003E 04FB0380
	v_max3_f32 v62, v130, v131, v62                            // 0000000066C0: D1D3003E 04FB0782
	v_max3_f32 v62, v132, v133, v62                            // 0000000066C8: D1D3003E 04FB0B84
	v_max3_f32 v62, v134, v135, v62                            // 0000000066D0: D1D3003E 04FB0F86
	v_max3_f32 v62, v136, v137, v62                            // 0000000066D8: D1D3003E 04FB1388
	v_max3_f32 v62, v138, v139, v62                            // 0000000066E0: D1D3003E 04FB178A
	v_max3_f32 v62, v140, v141, v62                            // 0000000066E8: D1D3003E 04FB1B8C
	v_max3_f32 v62, v142, v143, v62                            // 0000000066F0: D1D3003E 04FB1F8E
	ds_write_b32 v11, v62 offset:16896                         // 0000000066F8: D81A4200 00003E0B
	buffer_load_dwordx4 a[56:59], v32, s[16:19], 0 offen       // 000000006700: E05C1000 80843820
	v_mul_u32_u24_dpp v41, v20, v68 row_newbcast:1 row_mask:0xf bank_mask:0xf// 000000006708: 105288FA FF015114
	v_mul_u32_u24_dpp v42, v20, v68 row_newbcast:5 row_mask:0xf bank_mask:0xf// 000000006710: 105488FA FF015514
	v_mul_u32_u24_dpp v43, v20, v68 row_newbcast:9 row_mask:0xf bank_mask:0xf// 000000006718: 105688FA FF015914
	v_mul_u32_u24_dpp v44, v20, v68 row_newbcast:13 row_mask:0xf bank_mask:0xf// 000000006720: 105888FA FF015D14
	v_add_u32_e32 v37, v41, v7                                 // 000000006728: 684A0F29
	v_add_u32_e32 v38, v42, v7                                 // 00000000672C: 684C0F2A
	v_add_u32_e32 v39, v43, v7                                 // 000000006730: 684E0F2B
	v_add_u32_e32 v40, v44, v7                                 // 000000006734: 68500F2C
	v_mul_f32_e32 v224, v63, v224                              // 000000006738: 0BC1C13F
	v_mul_f32_e32 v225, v63, v225                              // 00000000673C: 0BC3C33F
	v_mul_f32_e32 v226, v63, v226                              // 000000006740: 0BC5C53F
	v_mul_f32_e32 v227, v63, v227                              // 000000006744: 0BC7C73F
	v_mul_f32_e32 v228, v63, v228                              // 000000006748: 0BC9C93F
	v_mul_f32_e32 v229, v63, v229                              // 00000000674C: 0BCBCB3F
	v_mul_f32_e32 v230, v63, v230                              // 000000006750: 0BCDCD3F
	v_mul_f32_e32 v231, v63, v231                              // 000000006754: 0BCFCF3F
	s_waitcnt lgkmcnt(0)                                       // 000000006758: BF8CC07F
	s_barrier                                                  // 00000000675C: BF8A0000
	ds_read_b32 v80, v10 offset:16896                          // 000000006760: D86C4200 5000000A
	ds_read_b32 v81, v10 offset:16960                          // 000000006768: D86C4240 5100000A
	ds_read_b32 v82, v10 offset:17024                          // 000000006770: D86C4280 5200000A
	ds_read_b32 v83, v10 offset:17088                          // 000000006778: D86C42C0 5300000A
	ds_read_b32 v84, v10 offset:17152                          // 000000006780: D86C4300 5400000A
	ds_read_b32 v85, v10 offset:17216                          // 000000006788: D86C4340 5500000A
	ds_read_b32 v86, v10 offset:17280                          // 000000006790: D86C4380 5600000A
	ds_read_b32 v87, v10 offset:17344                          // 000000006798: D86C43C0 5700000A
	ds_read_b32 v88, v10 offset:17408                          // 0000000067A0: D86C4400 5800000A
	ds_read_b32 v89, v10 offset:17472                          // 0000000067A8: D86C4440 5900000A
	ds_read_b32 v90, v10 offset:17536                          // 0000000067B0: D86C4480 5A00000A
	ds_read_b32 v91, v10 offset:17600                          // 0000000067B8: D86C44C0 5B00000A
	ds_read_b32 v92, v10 offset:17664                          // 0000000067C0: D86C4500 5C00000A
	ds_read_b32 v93, v10 offset:17728                          // 0000000067C8: D86C4540 5D00000A
	ds_read_b32 v94, v10 offset:17792                          // 0000000067D0: D86C4580 5E00000A
	ds_read_b32 v95, v10 offset:17856                          // 0000000067D8: D86C45C0 5F00000A
	buffer_load_dwordx4 a[60:63], v32, s[16:19], 0 offen offset:1024// 0000000067E0: E05C1400 80843C20
	v_cvt_f32_i32_e32 v192, v192                               // 0000000067E8: 7F800BC0
	v_cvt_f32_i32_e32 v193, v193                               // 0000000067EC: 7F820BC1
	v_cvt_f32_i32_e32 v194, v194                               // 0000000067F0: 7F840BC2
	v_cvt_f32_i32_e32 v195, v195                               // 0000000067F4: 7F860BC3
	v_cvt_f32_i32_e32 v196, v196                               // 0000000067F8: 7F880BC4
	v_cvt_f32_i32_e32 v197, v197                               // 0000000067FC: 7F8A0BC5
	v_cvt_f32_i32_e32 v198, v198                               // 000000006800: 7F8C0BC6
	v_cvt_f32_i32_e32 v199, v199                               // 000000006804: 7F8E0BC7
	v_mul_f32_e32 v192, v58, v192                              // 000000006808: 0B81813A
	v_mul_f32_e32 v193, v58, v193                              // 00000000680C: 0B83833A
	v_mul_f32_e32 v194, v58, v194                              // 000000006810: 0B85853A
	v_mul_f32_e32 v195, v58, v195                              // 000000006814: 0B87873A
	v_mul_f32_e32 v196, v58, v196                              // 000000006818: 0B89893A
	v_mul_f32_e32 v197, v58, v197                              // 00000000681C: 0B8B8B3A
	v_mul_f32_e32 v198, v58, v198                              // 000000006820: 0B8D8D3A
	v_mul_f32_e32 v199, v58, v199                              // 000000006824: 0B8F8F3A
	s_waitcnt lgkmcnt(0)                                       // 000000006828: BF8CC07F
	v_max3_f32 v62, v80, v81, v62                              // 00000000682C: D1D3003E 04FAA350
	v_max3_f32 v62, v82, v83, v62                              // 000000006834: D1D3003E 04FAA752
	v_max3_f32 v62, v84, v85, v62                              // 00000000683C: D1D3003E 04FAAB54
	v_max3_f32 v62, v86, v87, v62                              // 000000006844: D1D3003E 04FAAF56
	v_max3_f32 v62, v88, v89, v62                              // 00000000684C: D1D3003E 04FAB358
	v_max3_f32 v62, v90, v91, v62                              // 000000006854: D1D3003E 04FAB75A
	v_max3_f32 v62, v92, v93, v62                              // 00000000685C: D1D3003E 04FABB5C
	v_max3_f32 v62, v94, v95, v62                              // 000000006864: D1D3003E 04FABF5E
	buffer_load_dwordx4 a[96:99], v37, s[20:23], 0 offen       // 00000000686C: E05C1000 80856025
	v_mov_b32_e32 v41, 0xff800000                              // 000000006874: 7E5202FF FF800000
	v_cmp_eq_u32_e64 s[40:41], v41, v14                        // 00000000687C: D0CA0028 00021D29
	s_nop 1                                                    // 000000006884: BF800001
	v_max_f32_e32 v18, v62, v14                                // 000000006888: 16241D3E
	v_mul_f32_e32 v67, s64, v18                                // 00000000688C: 0A862440
	v_fma_f32 v128, v128, s64, -v67                            // 000000006890: D1CB0080 850C8180
	v_fma_f32 v129, v129, s64, -v67                            // 000000006898: D1CB0081 850C8181
	v_fma_f32 v130, v130, s64, -v67                            // 0000000068A0: D1CB0082 850C8182
	v_fma_f32 v131, v131, s64, -v67                            // 0000000068A8: D1CB0083 850C8183
	v_fma_f32 v132, v132, s64, -v67                            // 0000000068B0: D1CB0084 850C8184
	v_fma_f32 v133, v133, s64, -v67                            // 0000000068B8: D1CB0085 850C8185
	v_fma_f32 v134, v134, s64, -v67                            // 0000000068C0: D1CB0086 850C8186
	v_fma_f32 v135, v135, s64, -v67                            // 0000000068C8: D1CB0087 850C8187
	v_fma_f32 v136, v136, s64, -v67                            // 0000000068D0: D1CB0088 850C8188
	v_fma_f32 v137, v137, s64, -v67                            // 0000000068D8: D1CB0089 850C8189
	v_fma_f32 v138, v138, s64, -v67                            // 0000000068E0: D1CB008A 850C818A
	v_fma_f32 v139, v139, s64, -v67                            // 0000000068E8: D1CB008B 850C818B
	v_fma_f32 v140, v140, s64, -v67                            // 0000000068F0: D1CB008C 850C818C
	v_fma_f32 v141, v141, s64, -v67                            // 0000000068F8: D1CB008D 850C818D
	v_fma_f32 v142, v142, s64, -v67                            // 000000006900: D1CB008E 850C818E
	v_fma_f32 v143, v143, s64, -v67                            // 000000006908: D1CB008F 850C818F
	buffer_load_dwordx4 a[100:103], v38, s[20:23], 0 offen     // 000000006910: E05C1000 80856426
	v_exp_f32_e32 v128, v128                                   // 000000006918: 7F004180
	v_exp_f32_e32 v129, v129                                   // 00000000691C: 7F024181
	v_exp_f32_e32 v130, v130                                   // 000000006920: 7F044182
	v_exp_f32_e32 v131, v131                                   // 000000006924: 7F064183
	v_exp_f32_e32 v132, v132                                   // 000000006928: 7F084184
	v_exp_f32_e32 v133, v133                                   // 00000000692C: 7F0A4185
	v_exp_f32_e32 v134, v134                                   // 000000006930: 7F0C4186
	v_exp_f32_e32 v135, v135                                   // 000000006934: 7F0E4187
	v_exp_f32_e32 v136, v136                                   // 000000006938: 7F104188
	v_exp_f32_e32 v137, v137                                   // 00000000693C: 7F124189
	v_exp_f32_e32 v138, v138                                   // 000000006940: 7F14418A
	v_exp_f32_e32 v139, v139                                   // 000000006944: 7F16418B
	v_exp_f32_e32 v140, v140                                   // 000000006948: 7F18418C
	v_exp_f32_e32 v141, v141                                   // 00000000694C: 7F1A418D
	v_exp_f32_e32 v142, v142                                   // 000000006950: 7F1C418E
	v_exp_f32_e32 v143, v143                                   // 000000006954: 7F1E418F
	buffer_load_dwordx4 a[104:107], v39, s[20:23], 0 offen     // 000000006958: E05C1000 80856827
	v_mul_f32_dpp v240, v252, v128 quad_perm:[0,0,0,0] row_mask:0xf bank_mask:0xf// 000000006960: 0BE100FA FF0000FC
	v_mul_f32_dpp v241, v252, v129 quad_perm:[1,1,1,1] row_mask:0xf bank_mask:0xf// 000000006968: 0BE302FA FF0055FC
	v_mul_f32_dpp v242, v252, v130 quad_perm:[2,2,2,2] row_mask:0xf bank_mask:0xf// 000000006970: 0BE504FA FF00AAFC
	v_mul_f32_dpp v243, v252, v131 quad_perm:[3,3,3,3] row_mask:0xf bank_mask:0xf// 000000006978: 0BE706FA FF00FFFC
	v_mul_f32_dpp v244, v253, v132 quad_perm:[0,0,0,0] row_mask:0xf bank_mask:0xf// 000000006980: 0BE908FA FF0000FD
	v_mul_f32_dpp v245, v253, v133 quad_perm:[1,1,1,1] row_mask:0xf bank_mask:0xf// 000000006988: 0BEB0AFA FF0055FD
	v_mul_f32_dpp v246, v253, v134 quad_perm:[2,2,2,2] row_mask:0xf bank_mask:0xf// 000000006990: 0BED0CFA FF00AAFD
	v_mul_f32_dpp v247, v253, v135 quad_perm:[3,3,3,3] row_mask:0xf bank_mask:0xf// 000000006998: 0BEF0EFA FF00FFFD
	v_mul_f32_dpp v248, v254, v136 quad_perm:[0,0,0,0] row_mask:0xf bank_mask:0xf// 0000000069A0: 0BF110FA FF0000FE
	v_mul_f32_dpp v249, v254, v137 quad_perm:[1,1,1,1] row_mask:0xf bank_mask:0xf// 0000000069A8: 0BF312FA FF0055FE
	v_mul_f32_dpp v250, v254, v138 quad_perm:[2,2,2,2] row_mask:0xf bank_mask:0xf// 0000000069B0: 0BF514FA FF00AAFE
	v_mul_f32_dpp v251, v254, v139 quad_perm:[3,3,3,3] row_mask:0xf bank_mask:0xf// 0000000069B8: 0BF716FA FF00FFFE
	v_mul_f32_dpp v252, v255, v140 quad_perm:[0,0,0,0] row_mask:0xf bank_mask:0xf// 0000000069C0: 0BF918FA FF0000FF
	v_mul_f32_dpp v253, v255, v141 quad_perm:[1,1,1,1] row_mask:0xf bank_mask:0xf// 0000000069C8: 0BFB1AFA FF0055FF
	v_mul_f32_dpp v254, v255, v142 quad_perm:[2,2,2,2] row_mask:0xf bank_mask:0xf// 0000000069D0: 0BFD1CFA FF00AAFF
	v_mul_f32_dpp v255, v255, v143 quad_perm:[3,3,3,3] row_mask:0xf bank_mask:0xf// 0000000069D8: 0BFF1EFA FF00FFFF
	v_mov_b32_e32 v62, 0x358637bd                              // 0000000069E0: 7E7C02FF 358637BD
	v_max3_f32 v62, |v240|, |v241|, v62                        // 0000000069E8: D1D3033E 04FBE3F0
	v_max3_f32 v62, |v242|, |v243|, v62                        // 0000000069F0: D1D3033E 04FBE7F2
	v_max3_f32 v62, |v244|, |v245|, v62                        // 0000000069F8: D1D3033E 04FBEBF4
	v_max3_f32 v62, |v246|, |v247|, v62                        // 000000006A00: D1D3033E 04FBEFF6
	v_max3_f32 v62, |v248|, |v249|, v62                        // 000000006A08: D1D3033E 04FBF3F8
	v_max3_f32 v62, |v250|, |v251|, v62                        // 000000006A10: D1D3033E 04FBF7FA
	v_max3_f32 v62, |v252|, |v253|, v62                        // 000000006A18: D1D3033E 04FBFBFC
	v_max3_f32 v62, |v254|, |v255|, v62                        // 000000006A20: D1D3033E 04FBFFFE
	buffer_load_dwordx4 a[108:111], v40, s[20:23], 0 offen     // 000000006A28: E05C1000 80856C28
	ds_write_b32 v11, v62 offset:20992                         // 000000006A30: D81A5200 00003E0B
	v_sub_f32_e32 v63, v14, v18                                // 000000006A38: 047E250E
	v_cndmask_b32_e64 v63, v63, 0, s[40:41]                    // 000000006A3C: D100003F 00A1013F
	v_mov_b32_e32 v14, v18                                     // 000000006A44: 7E1C0312
	v_mul_f32_e32 v63, s64, v63                                // 000000006A48: 0A7E7E40
	v_exp_f32_e32 v63, v63                                     // 000000006A4C: 7E7E413F
	s_waitcnt lgkmcnt(0)                                       // 000000006A50: BF8CC07F
	s_barrier                                                  // 000000006A54: BF8A0000
	ds_read_b32 v80, v10 offset:20992                          // 000000006A58: D86C5200 5000000A
	ds_read_b32 v81, v10 offset:21056                          // 000000006A60: D86C5240 5100000A
	ds_read_b32 v82, v10 offset:21120                          // 000000006A68: D86C5280 5200000A
	ds_read_b32 v83, v10 offset:21184                          // 000000006A70: D86C52C0 5300000A
	ds_read_b32 v84, v10 offset:21248                          // 000000006A78: D86C5300 5400000A
	ds_read_b32 v85, v10 offset:21312                          // 000000006A80: D86C5340 5500000A
	ds_read_b32 v86, v10 offset:21376                          // 000000006A88: D86C5380 5600000A
	ds_read_b32 v87, v10 offset:21440                          // 000000006A90: D86C53C0 5700000A
	ds_read_b32 v88, v10 offset:21504                          // 000000006A98: D86C5400 5800000A
	ds_read_b32 v89, v10 offset:21568                          // 000000006AA0: D86C5440 5900000A
	ds_read_b32 v90, v10 offset:21632                          // 000000006AA8: D86C5480 5A00000A
	ds_read_b32 v91, v10 offset:21696                          // 000000006AB0: D86C54C0 5B00000A
	ds_read_b32 v92, v10 offset:21760                          // 000000006AB8: D86C5500 5C00000A
	ds_read_b32 v93, v10 offset:21824                          // 000000006AC0: D86C5540 5D00000A
	ds_read_b32 v94, v10 offset:21888                          // 000000006AC8: D86C5580 5E00000A
	ds_read_b32 v95, v10 offset:21952                          // 000000006AD0: D86C55C0 5F00000A
	v_mul_f32_e32 v47, v63, v47                                // 000000006AD8: 0A5E5F3F
	v_mov_b32_e32 v18, v128                                    // 000000006ADC: 7E240380
	v_add_f32_e32 v18, v129, v18                               // 000000006AE0: 02242581
	v_add_f32_e32 v18, v130, v18                               // 000000006AE4: 02242582
	v_add_f32_e32 v18, v131, v18                               // 000000006AE8: 02242583
	v_add_f32_e32 v18, v132, v18                               // 000000006AEC: 02242584
	v_add_f32_e32 v18, v133, v18                               // 000000006AF0: 02242585
	v_add_f32_e32 v18, v134, v18                               // 000000006AF4: 02242586
	v_add_f32_e32 v18, v135, v18                               // 000000006AF8: 02242587
	v_add_f32_e32 v18, v136, v18                               // 000000006AFC: 02242588
	v_add_f32_e32 v18, v137, v18                               // 000000006B00: 02242589
	v_add_f32_e32 v18, v138, v18                               // 000000006B04: 0224258A
	v_add_f32_e32 v18, v139, v18                               // 000000006B08: 0224258B
	v_add_f32_e32 v18, v140, v18                               // 000000006B0C: 0224258C
	v_add_f32_e32 v18, v141, v18                               // 000000006B10: 0224258D
	v_add_f32_e32 v18, v142, v18                               // 000000006B14: 0224258E
	v_add_f32_e32 v18, v143, v18                               // 000000006B18: 0224258F
	v_add_f32_e32 v47, v18, v47                                // 000000006B1C: 025E5F12
	s_waitcnt lgkmcnt(0)                                       // 000000006B20: BF8CC07F
	v_max3_f32 v62, |v80|, |v81|, v62                          // 000000006B24: D1D3033E 04FAA350
	v_max3_f32 v62, |v82|, |v83|, v62                          // 000000006B2C: D1D3033E 04FAA752
	v_max3_f32 v62, |v84|, |v85|, v62                          // 000000006B34: D1D3033E 04FAAB54
	v_max3_f32 v62, |v86|, |v87|, v62                          // 000000006B3C: D1D3033E 04FAAF56
	v_max3_f32 v62, |v88|, |v89|, v62                          // 000000006B44: D1D3033E 04FAB358
	v_max3_f32 v62, |v90|, |v91|, v62                          // 000000006B4C: D1D3033E 04FAB75A
	v_max3_f32 v62, |v92|, |v93|, v62                          // 000000006B54: D1D3033E 04FABB5C
	v_max3_f32 v62, |v94|, |v95|, v62                          // 000000006B5C: D1D3033E 04FABF5E
	s_nop 2                                                    // 000000006B64: BF800002
	v_rcp_f32_e32 v62, v62                                     // 000000006B68: 7E7C453E
	s_nop 1                                                    // 000000006B6C: BF800001
	v_mul_f32_e32 v62, 0x42fe0000, v62                         // 000000006B70: 0A7C7CFF 42FE0000
	v_mul_f32_e32 v128, v62, v240                              // 000000006B78: 0B01E13E
	v_mul_f32_e32 v129, v62, v241                              // 000000006B7C: 0B03E33E
	v_mul_f32_e32 v130, v62, v242                              // 000000006B80: 0B05E53E
	v_mul_f32_e32 v131, v62, v243                              // 000000006B84: 0B07E73E
	v_mul_f32_e32 v132, v62, v244                              // 000000006B88: 0B09E93E
	v_mul_f32_e32 v133, v62, v245                              // 000000006B8C: 0B0BEB3E
	v_mul_f32_e32 v134, v62, v246                              // 000000006B90: 0B0DED3E
	v_mul_f32_e32 v135, v62, v247                              // 000000006B94: 0B0FEF3E
	v_mul_f32_e32 v136, v62, v248                              // 000000006B98: 0B11F13E
	v_mul_f32_e32 v137, v62, v249                              // 000000006B9C: 0B13F33E
	v_mul_f32_e32 v138, v62, v250                              // 000000006BA0: 0B15F53E
	v_mul_f32_e32 v139, v62, v251                              // 000000006BA4: 0B17F73E
	v_mul_f32_e32 v140, v62, v252                              // 000000006BA8: 0B19F93E
	v_mul_f32_e32 v141, v62, v253                              // 000000006BAC: 0B1BFB3E
	v_mul_f32_e32 v142, v62, v254                              // 000000006BB0: 0B1DFD3E
	v_mul_f32_e32 v143, v62, v255                              // 000000006BB4: 0B1FFF3E
	v_cvt_i32_f32_e32 v128, v128                               // 000000006BB8: 7F001180
	v_cvt_i32_f32_e32 v129, v129                               // 000000006BBC: 7F021181
	v_cvt_i32_f32_e32 v130, v130                               // 000000006BC0: 7F041182
	v_cvt_i32_f32_e32 v131, v131                               // 000000006BC4: 7F061183
	v_cvt_i32_f32_e32 v132, v132                               // 000000006BC8: 7F081184
	v_cvt_i32_f32_e32 v133, v133                               // 000000006BCC: 7F0A1185
	v_cvt_i32_f32_e32 v134, v134                               // 000000006BD0: 7F0C1186
	v_cvt_i32_f32_e32 v135, v135                               // 000000006BD4: 7F0E1187
	v_cvt_i32_f32_e32 v136, v136                               // 000000006BD8: 7F101188
	v_cvt_i32_f32_e32 v137, v137                               // 000000006BDC: 7F121189
	v_cvt_i32_f32_e32 v138, v138                               // 000000006BE0: 7F14118A
	v_cvt_i32_f32_e32 v139, v139                               // 000000006BE4: 7F16118B
	v_cvt_i32_f32_e32 v140, v140                               // 000000006BE8: 7F18118C
	v_cvt_i32_f32_e32 v141, v141                               // 000000006BEC: 7F1A118D
	v_cvt_i32_f32_e32 v142, v142                               // 000000006BF0: 7F1C118E
	v_cvt_i32_f32_e32 v143, v143                               // 000000006BF4: 7F1E118F
	v_perm_b32 v128, v129, v128, s53                           // 000000006BF8: D1ED0080 00D70181
	v_perm_b32 v128, v130, v128, s54                           // 000000006C00: D1ED0080 00DB0182
	v_perm_b32 v128, v131, v128, s55                           // 000000006C08: D1ED0080 00DF0183
	v_perm_b32 v129, v133, v132, s53                           // 000000006C10: D1ED0081 00D70985
	v_perm_b32 v129, v134, v129, s54                           // 000000006C18: D1ED0081 00DB0386
	v_perm_b32 v129, v135, v129, s55                           // 000000006C20: D1ED0081 00DF0387
	v_perm_b32 v130, v137, v136, s53                           // 000000006C28: D1ED0082 00D71189
	v_perm_b32 v130, v138, v130, s54                           // 000000006C30: D1ED0082 00DB058A
	v_perm_b32 v130, v139, v130, s55                           // 000000006C38: D1ED0082 00DF058B
	v_perm_b32 v131, v141, v140, s53                           // 000000006C40: D1ED0083 00D7198D
	v_perm_b32 v131, v142, v131, s54                           // 000000006C48: D1ED0083 00DB078E
	v_perm_b32 v131, v143, v131, s55                           // 000000006C50: D1ED0083 00DF078F
	ds_write_b32 v13, v128 offset:25088                        // 000000006C58: D81A6200 0000800D
	ds_write_b32 v13, v129 offset:26112                        // 000000006C60: D81A6600 0000810D
	ds_write_b32 v13, v130 offset:27136                        // 000000006C68: D81A6A00 0000820D
	ds_write_b32 v13, v131 offset:28160                        // 000000006C70: D81A6E00 0000830D
	v_add_f32_e32 v224, v224, v192                             // 000000006C78: 03C181E0
	v_add_f32_e32 v225, v225, v193                             // 000000006C7C: 03C383E1
	v_add_f32_e32 v226, v226, v194                             // 000000006C80: 03C585E2
	v_add_f32_e32 v227, v227, v195                             // 000000006C84: 03C787E3
	v_add_f32_e32 v228, v228, v196                             // 000000006C88: 03C989E4
	v_add_f32_e32 v229, v229, v197                             // 000000006C8C: 03CB8BE5
	v_add_f32_e32 v230, v230, v198                             // 000000006C90: 03CD8DE6
	v_add_f32_e32 v231, v231, v199                             // 000000006C94: 03CF8FE7
	v_rcp_f32_e32 v58, v62                                     // 000000006C98: 7E74453E
	s_waitcnt lgkmcnt(0)                                       // 000000006C9C: BF8CC07F
	s_barrier                                                  // 000000006CA0: BF8A0000
	ds_read_b64 v[128:129], v12 offset:25088                   // 000000006CA4: D8EC6200 8000000C
	ds_read_b64 v[130:131], v12 offset:25216                   // 000000006CAC: D8EC6280 8200000C
	ds_read_b64 v[132:133], v12 offset:26112                   // 000000006CB4: D8EC6600 8400000C
	ds_read_b64 v[134:135], v12 offset:26240                   // 000000006CBC: D8EC6680 8600000C
	ds_read_b64 v[136:137], v12 offset:27136                   // 000000006CC4: D8EC6A00 8800000C
	ds_read_b64 v[138:139], v12 offset:27264                   // 000000006CCC: D8EC6A80 8A00000C
	ds_read_b64 v[140:141], v12 offset:28160                   // 000000006CD4: D8EC6E00 8C00000C
	ds_read_b64 v[142:143], v12 offset:28288                   // 000000006CDC: D8EC6E80 8E00000C
	s_waitcnt vmcnt(15)                                        // 000000006CE4: BF8C0F7F
	s_waitcnt lgkmcnt(7)                                       // 000000006CE8: BF8CC77F
	v_mfma_i32_16x16x32_i8 v[192:195], a[64:65], v[128:129], 0 // 000000006CEC: D3D700C0 0A030140
	s_waitcnt lgkmcnt(6)                                       // 000000006CF4: BF8CC67F
	v_mfma_i32_16x16x32_i8 v[192:195], a[66:67], v[130:131], v[192:195]// 000000006CF8: D3D700C0 0F030542
	buffer_load_dwordx4 a[112:115], v37, s[20:23], 0 offen offset:1024// 000000006D00: E05C1400 80857025
	s_waitcnt lgkmcnt(5)                                       // 000000006D08: BF8CC57F
	v_mfma_i32_16x16x32_i8 v[192:195], a[68:69], v[132:133], v[192:195]// 000000006D0C: D3D700C0 0F030944
	s_waitcnt lgkmcnt(4)                                       // 000000006D14: BF8CC47F
	v_mfma_i32_16x16x32_i8 v[192:195], a[70:71], v[134:135], v[192:195]// 000000006D18: D3D700C0 0F030D46
	s_waitcnt lgkmcnt(3)                                       // 000000006D20: BF8CC37F
	v_mfma_i32_16x16x32_i8 v[192:195], a[72:73], v[136:137], v[192:195]// 000000006D24: D3D700C0 0F031148
	s_waitcnt lgkmcnt(2)                                       // 000000006D2C: BF8CC27F
	v_mfma_i32_16x16x32_i8 v[192:195], a[74:75], v[138:139], v[192:195]// 000000006D30: D3D700C0 0F03154A
	buffer_load_dwordx4 a[116:119], v38, s[20:23], 0 offen offset:1024// 000000006D38: E05C1400 80857426
	s_waitcnt lgkmcnt(1)                                       // 000000006D40: BF8CC17F
	v_mfma_i32_16x16x32_i8 v[192:195], a[76:77], v[140:141], v[192:195]// 000000006D44: D3D700C0 0F03194C
	s_waitcnt lgkmcnt(0)                                       // 000000006D4C: BF8CC07F
	v_mfma_i32_16x16x32_i8 v[192:195], a[78:79], v[142:143], v[192:195]// 000000006D50: D3D700C0 0F031D4E
	v_mfma_i32_16x16x32_i8 v[196:199], a[80:81], v[128:129], 0 // 000000006D58: D3D700C4 0A030150
	v_mfma_i32_16x16x32_i8 v[196:199], a[82:83], v[130:131], v[196:199]// 000000006D60: D3D700C4 0F130552
	buffer_load_dwordx4 a[120:123], v39, s[20:23], 0 offen offset:1024// 000000006D68: E05C1400 80857827
	v_mfma_i32_16x16x32_i8 v[196:199], a[84:85], v[132:133], v[196:199]// 000000006D70: D3D700C4 0F130954
	v_mfma_i32_16x16x32_i8 v[196:199], a[86:87], v[134:135], v[196:199]// 000000006D78: D3D700C4 0F130D56
	v_mfma_i32_16x16x32_i8 v[196:199], a[88:89], v[136:137], v[196:199]// 000000006D80: D3D700C4 0F131158
	v_mfma_i32_16x16x32_i8 v[196:199], a[90:91], v[138:139], v[196:199]// 000000006D88: D3D700C4 0F13155A
	buffer_load_dwordx4 a[124:127], v40, s[20:23], 0 offen offset:1024// 000000006D90: E05C1400 80857C28
	v_mfma_i32_16x16x32_i8 v[196:199], a[92:93], v[140:141], v[196:199]// 000000006D98: D3D700C4 0F13195C
	s_lshr_b32 s57, s70, 4                                     // 000000006DA0: 8F398446
	s_add_u32 s57, 48, s57                                     // 000000006DA4: 803939B0
	v_mfma_i32_16x16x32_i8 v[196:199], a[94:95], v[142:143], v[196:199]// 000000006DA8: D3D700C4 0F131D5E
	s_cmp_ge_u32 s57, s73                                      // 000000006DB0: BF094939
	s_cselect_b32 s56, 0, s56                                  // 000000006DB4: 85383880
	v_add_u32_e32 v1, s56, v1                                  // 000000006DB8: 68020238
	s_addk_i32 s70, 0x100                                      // 000000006DBC: B7460100
	s_cmp_lt_i32 s70, s71                                      // 000000006DC0: BF044746
	s_cbranch_scc0 label_15E7                                  // 000000006DC4: BF8402F5
	s_waitcnt vmcnt(8) lgkmcnt(0)                              // 000000006DC8: BF8C0078
	v_mul_u32_u24_dpp v41, v19, v68 row_newbcast:0 row_mask:0xf bank_mask:0xf// 000000006DCC: 105288FA FF015013
	v_mul_u32_u24_dpp v42, v19, v68 row_newbcast:4 row_mask:0xf bank_mask:0xf// 000000006DD4: 105488FA FF015413
	v_mul_u32_u24_dpp v43, v19, v68 row_newbcast:8 row_mask:0xf bank_mask:0xf// 000000006DDC: 105688FA FF015813
	v_mul_u32_u24_dpp v44, v19, v68 row_newbcast:12 row_mask:0xf bank_mask:0xf// 000000006DE4: 105888FA FF015C13
	v_add_u32_e32 v25, v41, v6                                 // 000000006DEC: 68320D29
	v_add_u32_e32 v26, v42, v6                                 // 000000006DF0: 68340D2A
	v_add_u32_e32 v27, v43, v6                                 // 000000006DF4: 68360D2B
	v_add_u32_e32 v28, v44, v6                                 // 000000006DF8: 68380D2C
	v_mul_u32_u24_dpp v41, v19, v78 quad_perm:[0,0,0,0] row_mask:0xf bank_mask:0xf// 000000006DFC: 10529CFA FF000013
	v_add_u32_e32 v2, v41, v74                                 // 000000006E04: 68049529
	v_mul_u32_u24_dpp v41, v19, v78 quad_perm:[0,0,0,0] row_mask:0xf bank_mask:0xf// 000000006E08: 10529CFA FF000013
	v_add_u32_e32 v70, v41, v75                                // 000000006E10: 688C9729
	v_mfma_i32_16x16x32_i8 v[128:131], a[32:33], v[96:97], 0   // 000000006E14: D3D70080 0A02C120
	v_mfma_i32_16x16x32_i8 v[128:131], a[34:35], v[98:99], v[128:131]// 000000006E1C: D3D70080 0E02C522
	buffer_load_dwordx4 a[0:3], v25, s[16:19], 0 offen         // 000000006E24: E05C1000 80840019
	v_mfma_i32_16x16x32_i8 v[128:131], a[36:37], v[100:101], v[128:131]// 000000006E2C: D3D70080 0E02C924
	v_mfma_i32_16x16x32_i8 v[128:131], a[38:39], v[102:103], v[128:131]// 000000006E34: D3D70080 0E02CD26
	buffer_load_dword v20, v1, s[24:27], 0 offen               // 000000006E3C: E0501000 80061401
	v_mfma_i32_16x16x32_i8 v[132:135], a[40:41], v[96:97], 0   // 000000006E44: D3D70084 0A02C128
	v_mfma_i32_16x16x32_i8 v[132:135], a[42:43], v[98:99], v[132:135]// 000000006E4C: D3D70084 0E12C52A
	buffer_load_dwordx4 a[4:7], v25, s[16:19], 0 offen offset:1024// 000000006E54: E05C1400 80840419
	v_mfma_i32_16x16x32_i8 v[132:135], a[44:45], v[100:101], v[132:135]// 000000006E5C: D3D70084 0E12C92C
	v_mfma_i32_16x16x32_i8 v[132:135], a[46:47], v[102:103], v[132:135]// 000000006E64: D3D70084 0E12CD2E
	v_mfma_i32_16x16x32_i8 v[136:139], a[48:49], v[96:97], 0   // 000000006E6C: D3D70088 0A02C130
	v_mfma_i32_16x16x32_i8 v[136:139], a[50:51], v[98:99], v[136:139]// 000000006E74: D3D70088 0E22C532
	buffer_load_dwordx4 a[8:11], v26, s[16:19], 0 offen        // 000000006E7C: E05C1000 8084081A
	v_mfma_i32_16x16x32_i8 v[136:139], a[52:53], v[100:101], v[136:139]// 000000006E84: D3D70088 0E22C934
	v_mfma_i32_16x16x32_i8 v[136:139], a[54:55], v[102:103], v[136:139]// 000000006E8C: D3D70088 0E22CD36
	v_mfma_i32_16x16x32_i8 v[140:143], a[56:57], v[96:97], 0   // 000000006E94: D3D7008C 0A02C138
	v_mfma_i32_16x16x32_i8 v[140:143], a[58:59], v[98:99], v[140:143]// 000000006E9C: D3D7008C 0E32C53A
	buffer_load_dwordx4 a[12:15], v26, s[16:19], 0 offen offset:1024// 000000006EA4: E05C1400 80840C1A
	v_mfma_i32_16x16x32_i8 v[140:143], a[60:61], v[100:101], v[140:143]// 000000006EAC: D3D7008C 0E32C93C
	v_mfma_i32_16x16x32_i8 v[140:143], a[62:63], v[102:103], v[140:143]// 000000006EB4: D3D7008C 0E32CD3E
	buffer_load_dword v52, v2, s[32:35], 0 offen               // 000000006EBC: E0501000 80083402
	v_mov_b32_dpp v41, v53 row_shr:4 row_mask:0xf bank_mask:0xf// 000000006EC4: 7E5202FA FF011435
	v_mov_b32_dpp v42, v53 row_shl:4 row_mask:0xf bank_mask:0xf// 000000006ECC: 7E5402FA FF010435
	v_cndmask_b32_e64 v248, v53, v41, s[44:45]                 // 000000006ED4: D10000F8 00B25335
	v_cndmask_b32_e64 v249, v42, v53, s[44:45]                 // 000000006EDC: D10000F9 00B26B2A
	v_mov_b32_dpp v41, v248 row_shr:8 row_mask:0xf bank_mask:0xf// 000000006EE4: 7E5202FA FF0118F8
	v_mov_b32_dpp v42, v248 row_shl:8 row_mask:0xf bank_mask:0xf// 000000006EEC: 7E5402FA FF0108F8
	v_mov_b32_dpp v43, v249 row_shr:8 row_mask:0xf bank_mask:0xf// 000000006EF4: 7E5602FA FF0118F9
	v_mov_b32_dpp v44, v249 row_shl:8 row_mask:0xf bank_mask:0xf// 000000006EFC: 7E5802FA FF0108F9
	v_mov_b32_e32 v45, v248                                    // 000000006F04: 7E5A03F8
	v_mov_b32_e32 v46, v249                                    // 000000006F08: 7E5C03F9
	v_cndmask_b32_e64 v248, v45, v41, s[42:43]                 // 000000006F0C: D10000F8 00AA532D
	v_cndmask_b32_e64 v250, v45, v42, s[78:79]                 // 000000006F14: D10000FA 013A552D
	v_cndmask_b32_e64 v249, v46, v43, s[42:43]                 // 000000006F1C: D10000F9 00AA572E
	v_cndmask_b32_e64 v251, v46, v44, s[78:79]                 // 000000006F24: D10000FB 013A592E
	v_mov_b32_dpp v41, v73 row_shr:4 row_mask:0xf bank_mask:0xf// 000000006F2C: 7E5202FA FF011449
	v_mov_b32_dpp v42, v73 row_shl:4 row_mask:0xf bank_mask:0xf// 000000006F34: 7E5402FA FF010449
	v_cndmask_b32_e64 v252, v73, v41, s[44:45]                 // 000000006F3C: D10000FC 00B25349
	v_cndmask_b32_e64 v253, v42, v73, s[44:45]                 // 000000006F44: D10000FD 00B2932A
	v_mov_b32_dpp v41, v252 row_shr:8 row_mask:0xf bank_mask:0xf// 000000006F4C: 7E5202FA FF0118FC
	v_mov_b32_dpp v42, v252 row_shl:8 row_mask:0xf bank_mask:0xf// 000000006F54: 7E5402FA FF0108FC
	v_mov_b32_dpp v43, v253 row_shr:8 row_mask:0xf bank_mask:0xf// 000000006F5C: 7E5602FA FF0118FD
	v_mov_b32_dpp v44, v253 row_shl:8 row_mask:0xf bank_mask:0xf// 000000006F64: 7E5802FA FF0108FD
	v_mov_b32_e32 v45, v252                                    // 000000006F6C: 7E5A03FC
	v_mov_b32_e32 v46, v253                                    // 000000006F70: 7E5C03FD
	v_cndmask_b32_e64 v252, v45, v41, s[42:43]                 // 000000006F74: D10000FC 00AA532D
	v_cndmask_b32_e64 v254, v45, v42, s[78:79]                 // 000000006F7C: D10000FE 013A552D
	v_cndmask_b32_e64 v253, v46, v43, s[42:43]                 // 000000006F84: D10000FD 00AA572E
	v_cndmask_b32_e64 v255, v46, v44, s[78:79]                 // 000000006F8C: D10000FF 013A592E
	buffer_load_dword v72, v70, s[36:39], 0 offen              // 000000006F94: E0501000 80094846
	v_cvt_f32_i32_e32 v128, v128                               // 000000006F9C: 7F000B80
	v_cvt_f32_i32_e32 v129, v129                               // 000000006FA0: 7F020B81
	v_cvt_f32_i32_e32 v130, v130                               // 000000006FA4: 7F040B82
	v_cvt_f32_i32_e32 v131, v131                               // 000000006FA8: 7F060B83
	v_cvt_f32_i32_e32 v132, v132                               // 000000006FAC: 7F080B84
	v_cvt_f32_i32_e32 v133, v133                               // 000000006FB0: 7F0A0B85
	v_cvt_f32_i32_e32 v134, v134                               // 000000006FB4: 7F0C0B86
	v_cvt_f32_i32_e32 v135, v135                               // 000000006FB8: 7F0E0B87
	v_cvt_f32_i32_e32 v136, v136                               // 000000006FBC: 7F100B88
	v_cvt_f32_i32_e32 v137, v137                               // 000000006FC0: 7F120B89
	v_cvt_f32_i32_e32 v138, v138                               // 000000006FC4: 7F140B8A
	v_cvt_f32_i32_e32 v139, v139                               // 000000006FC8: 7F160B8B
	v_cvt_f32_i32_e32 v140, v140                               // 000000006FCC: 7F180B8C
	v_cvt_f32_i32_e32 v141, v141                               // 000000006FD0: 7F1A0B8D
	v_cvt_f32_i32_e32 v142, v142                               // 000000006FD4: 7F1C0B8E
	v_cvt_f32_i32_e32 v143, v143                               // 000000006FD8: 7F1E0B8F
	v_mul_f32_e32 v128, v54, v128                              // 000000006FDC: 0B010136
	v_mul_f32_e32 v129, v54, v129                              // 000000006FE0: 0B030336
	v_mul_f32_e32 v130, v54, v130                              // 000000006FE4: 0B050536
	v_mul_f32_e32 v131, v54, v131                              // 000000006FE8: 0B070736
	v_mul_f32_e32 v132, v54, v132                              // 000000006FEC: 0B090936
	v_mul_f32_e32 v133, v54, v133                              // 000000006FF0: 0B0B0B36
	v_mul_f32_e32 v134, v54, v134                              // 000000006FF4: 0B0D0D36
	v_mul_f32_e32 v135, v54, v135                              // 000000006FF8: 0B0F0F36
	v_mul_f32_e32 v136, v54, v136                              // 000000006FFC: 0B111136
	v_mul_f32_e32 v137, v54, v137                              // 000000007000: 0B131336
	v_mul_f32_e32 v138, v54, v138                              // 000000007004: 0B151536
	v_mul_f32_e32 v139, v54, v139                              // 000000007008: 0B171736
	v_mul_f32_e32 v140, v54, v140                              // 00000000700C: 0B191936
	v_mul_f32_e32 v141, v54, v141                              // 000000007010: 0B1B1B36
	v_mul_f32_e32 v142, v54, v142                              // 000000007014: 0B1D1D36
	v_mul_f32_e32 v143, v54, v143                              // 000000007018: 0B1F1F36
	buffer_load_dwordx4 a[16:19], v27, s[16:19], 0 offen       // 00000000701C: E05C1000 8084101B
	v_mul_f32_dpp v128, v248, v128 quad_perm:[0,0,0,0] row_mask:0xf bank_mask:0xf// 000000007024: 0B0100FA FF0000F8
	v_mul_f32_dpp v129, v248, v129 quad_perm:[1,1,1,1] row_mask:0xf bank_mask:0xf// 00000000702C: 0B0302FA FF0055F8
	v_mul_f32_dpp v130, v248, v130 quad_perm:[2,2,2,2] row_mask:0xf bank_mask:0xf// 000000007034: 0B0504FA FF00AAF8
	v_mul_f32_dpp v131, v248, v131 quad_perm:[3,3,3,3] row_mask:0xf bank_mask:0xf// 00000000703C: 0B0706FA FF00FFF8
	v_mul_f32_dpp v132, v249, v132 quad_perm:[0,0,0,0] row_mask:0xf bank_mask:0xf// 000000007044: 0B0908FA FF0000F9
	v_mul_f32_dpp v133, v249, v133 quad_perm:[1,1,1,1] row_mask:0xf bank_mask:0xf// 00000000704C: 0B0B0AFA FF0055F9
	v_mul_f32_dpp v134, v249, v134 quad_perm:[2,2,2,2] row_mask:0xf bank_mask:0xf// 000000007054: 0B0D0CFA FF00AAF9
	v_mul_f32_dpp v135, v249, v135 quad_perm:[3,3,3,3] row_mask:0xf bank_mask:0xf// 00000000705C: 0B0F0EFA FF00FFF9
	v_mul_f32_dpp v136, v250, v136 quad_perm:[0,0,0,0] row_mask:0xf bank_mask:0xf// 000000007064: 0B1110FA FF0000FA
	v_mul_f32_dpp v137, v250, v137 quad_perm:[1,1,1,1] row_mask:0xf bank_mask:0xf// 00000000706C: 0B1312FA FF0055FA
	v_mul_f32_dpp v138, v250, v138 quad_perm:[2,2,2,2] row_mask:0xf bank_mask:0xf// 000000007074: 0B1514FA FF00AAFA
	v_mul_f32_dpp v139, v250, v139 quad_perm:[3,3,3,3] row_mask:0xf bank_mask:0xf// 00000000707C: 0B1716FA FF00FFFA
	v_mul_f32_dpp v140, v251, v140 quad_perm:[0,0,0,0] row_mask:0xf bank_mask:0xf// 000000007084: 0B1918FA FF0000FB
	v_mul_f32_dpp v141, v251, v141 quad_perm:[1,1,1,1] row_mask:0xf bank_mask:0xf// 00000000708C: 0B1B1AFA FF0055FB
	v_mul_f32_dpp v142, v251, v142 quad_perm:[2,2,2,2] row_mask:0xf bank_mask:0xf// 000000007094: 0B1D1CFA FF00AAFB
	v_mul_f32_dpp v143, v251, v143 quad_perm:[3,3,3,3] row_mask:0xf bank_mask:0xf// 00000000709C: 0B1F1EFA FF00FFFB
	buffer_load_dwordx4 a[20:23], v27, s[16:19], 0 offen offset:1024// 0000000070A4: E05C1400 8084141B
	s_cmp_le_i32 s90, s89                                      // 0000000070AC: BF05595A
	s_cbranch_scc1 label_1420                                  // 0000000070B0: BF850073
	v_mov_b32_e32 v69, 0xff800000                              // 0000000070B4: 7E8A02FF FF800000
	s_mov_b32 s60, s90                                         // 0000000070BC: BEBC005A
	s_add_u32 s61, s89, 0xff                                   // 0000000070C0: 803DFF59 000000FF
	v_mov_b32_e32 v41, s61                                     // 0000000070C8: 7E52023D
	v_lshrrev_b32_e32 v240, 4, v0                              // 0000000070CC: 21E00084
	v_mul_i32_i24_e32 v240, 4, v240                            // 0000000070D0: 0DE1E084
	v_add_u32_e32 v240, s60, v240                              // 0000000070D4: 69E1E03C
	v_and_b32_e32 v42, 15, v0                                  // 0000000070D8: 2654008F
	v_lshrrev_b32_e32 v42, 3, v42                              // 0000000070DC: 20545483
	s_mov_b32 s61, 0                                           // 0000000070E0: BEBD0080
	s_mul_i32 s60, 16, s7                                      // 0000000070E4: 923C0790
	v_add_u32_e32 v42, s61, v42                                // 0000000070E8: 6854543D
	v_sub_u32_e32 v240, v240, v42                              // 0000000070EC: 6BE055F0
	v_add_u32_e32 v240, s60, v240                              // 0000000070F0: 69E1E03C
	v_add_u32_e32 v241, 1, v240                                // 0000000070F4: 69E3E081
	v_add_u32_e32 v242, 2, v240                                // 0000000070F8: 69E5E082
	v_add_u32_e32 v243, 3, v240                                // 0000000070FC: 69E7E083
	v_cmp_le_u32_e64 s[40:41], v240, v41                       // 000000007100: D0CB0028 000253F0
	v_add_u32_e32 v240, 64, v240                               // 000000007108: 69E1E0C0
	s_nop 0                                                    // 00000000710C: BF800000
	v_cndmask_b32_e64 v128, v69, v128, s[40:41]                // 000000007110: D1000080 00A30145
	v_cmp_le_u32_e64 s[40:41], v241, v41                       // 000000007118: D0CB0028 000253F1
	v_add_u32_e32 v241, 64, v241                               // 000000007120: 69E3E2C0
	s_nop 0                                                    // 000000007124: BF800000
	v_cndmask_b32_e64 v129, v69, v129, s[40:41]                // 000000007128: D1000081 00A30345
	v_cmp_le_u32_e64 s[40:41], v242, v41                       // 000000007130: D0CB0028 000253F2
	v_add_u32_e32 v242, 64, v242                               // 000000007138: 69E5E4C0
	s_nop 0                                                    // 00000000713C: BF800000
	v_cndmask_b32_e64 v130, v69, v130, s[40:41]                // 000000007140: D1000082 00A30545
	v_cmp_le_u32_e64 s[40:41], v243, v41                       // 000000007148: D0CB0028 000253F3
	v_add_u32_e32 v243, 64, v243                               // 000000007150: 69E7E6C0
	s_nop 0                                                    // 000000007154: BF800000
	v_cndmask_b32_e64 v131, v69, v131, s[40:41]                // 000000007158: D1000083 00A30745
	v_cmp_le_u32_e64 s[40:41], v240, v41                       // 000000007160: D0CB0028 000253F0
	v_add_u32_e32 v240, 64, v240                               // 000000007168: 69E1E0C0
	s_nop 0                                                    // 00000000716C: BF800000
	v_cndmask_b32_e64 v132, v69, v132, s[40:41]                // 000000007170: D1000084 00A30945
	v_cmp_le_u32_e64 s[40:41], v241, v41                       // 000000007178: D0CB0028 000253F1
	v_add_u32_e32 v241, 64, v241                               // 000000007180: 69E3E2C0
	s_nop 0                                                    // 000000007184: BF800000
	v_cndmask_b32_e64 v133, v69, v133, s[40:41]                // 000000007188: D1000085 00A30B45
	v_cmp_le_u32_e64 s[40:41], v242, v41                       // 000000007190: D0CB0028 000253F2
	v_add_u32_e32 v242, 64, v242                               // 000000007198: 69E5E4C0
	s_nop 0                                                    // 00000000719C: BF800000
	v_cndmask_b32_e64 v134, v69, v134, s[40:41]                // 0000000071A0: D1000086 00A30D45
	v_cmp_le_u32_e64 s[40:41], v243, v41                       // 0000000071A8: D0CB0028 000253F3
	v_add_u32_e32 v243, 64, v243                               // 0000000071B0: 69E7E6C0
	s_nop 0                                                    // 0000000071B4: BF800000
	v_cndmask_b32_e64 v135, v69, v135, s[40:41]                // 0000000071B8: D1000087 00A30F45
	v_cmp_le_u32_e64 s[40:41], v240, v41                       // 0000000071C0: D0CB0028 000253F0
	v_add_u32_e32 v240, 64, v240                               // 0000000071C8: 69E1E0C0
	s_nop 0                                                    // 0000000071CC: BF800000
	v_cndmask_b32_e64 v136, v69, v136, s[40:41]                // 0000000071D0: D1000088 00A31145
	v_cmp_le_u32_e64 s[40:41], v241, v41                       // 0000000071D8: D0CB0028 000253F1
	v_add_u32_e32 v241, 64, v241                               // 0000000071E0: 69E3E2C0
	s_nop 0                                                    // 0000000071E4: BF800000
	v_cndmask_b32_e64 v137, v69, v137, s[40:41]                // 0000000071E8: D1000089 00A31345
	v_cmp_le_u32_e64 s[40:41], v242, v41                       // 0000000071F0: D0CB0028 000253F2
	v_add_u32_e32 v242, 64, v242                               // 0000000071F8: 69E5E4C0
	s_nop 0                                                    // 0000000071FC: BF800000
	v_cndmask_b32_e64 v138, v69, v138, s[40:41]                // 000000007200: D100008A 00A31545
	v_cmp_le_u32_e64 s[40:41], v243, v41                       // 000000007208: D0CB0028 000253F3
	v_add_u32_e32 v243, 64, v243                               // 000000007210: 69E7E6C0
	s_nop 0                                                    // 000000007214: BF800000
	v_cndmask_b32_e64 v139, v69, v139, s[40:41]                // 000000007218: D100008B 00A31745
	v_cmp_le_u32_e64 s[40:41], v240, v41                       // 000000007220: D0CB0028 000253F0
	v_add_u32_e32 v240, 64, v240                               // 000000007228: 69E1E0C0
	s_nop 0                                                    // 00000000722C: BF800000
	v_cndmask_b32_e64 v140, v69, v140, s[40:41]                // 000000007230: D100008C 00A31945
	v_cmp_le_u32_e64 s[40:41], v241, v41                       // 000000007238: D0CB0028 000253F1
	v_add_u32_e32 v241, 64, v241                               // 000000007240: 69E3E2C0
	s_nop 0                                                    // 000000007244: BF800000
	v_cndmask_b32_e64 v141, v69, v141, s[40:41]                // 000000007248: D100008D 00A31B45
	v_cmp_le_u32_e64 s[40:41], v242, v41                       // 000000007250: D0CB0028 000253F2
	v_add_u32_e32 v242, 64, v242                               // 000000007258: 69E5E4C0
	s_nop 0                                                    // 00000000725C: BF800000
	v_cndmask_b32_e64 v142, v69, v142, s[40:41]                // 000000007260: D100008E 00A31D45
	v_cmp_le_u32_e64 s[40:41], v243, v41                       // 000000007268: D0CB0028 000253F3
	v_add_u32_e32 v243, 64, v243                               // 000000007270: 69E7E6C0
	s_nop 0                                                    // 000000007274: BF800000
	v_cndmask_b32_e64 v143, v69, v143, s[40:41]                // 000000007278: D100008F 00A31F45

0000000000007280 <label_1420>:
	s_add_u32 s90, s91, s90                                    // 000000007280: 805A5A5B
	v_mov_b32_e32 v62, v128                                    // 000000007284: 7E7C0380
	v_max3_f32 v62, v128, v129, v62                            // 000000007288: D1D3003E 04FB0380
	v_max3_f32 v62, v130, v131, v62                            // 000000007290: D1D3003E 04FB0782
	v_max3_f32 v62, v132, v133, v62                            // 000000007298: D1D3003E 04FB0B84
	v_max3_f32 v62, v134, v135, v62                            // 0000000072A0: D1D3003E 04FB0F86
	v_max3_f32 v62, v136, v137, v62                            // 0000000072A8: D1D3003E 04FB1388
	v_max3_f32 v62, v138, v139, v62                            // 0000000072B0: D1D3003E 04FB178A
	v_max3_f32 v62, v140, v141, v62                            // 0000000072B8: D1D3003E 04FB1B8C
	v_max3_f32 v62, v142, v143, v62                            // 0000000072C0: D1D3003E 04FB1F8E
	ds_write_b32 v11, v62 offset:16896                         // 0000000072C8: D81A4200 00003E0B
	buffer_load_dwordx4 a[24:27], v28, s[16:19], 0 offen       // 0000000072D0: E05C1000 8084181C
	v_mul_u32_u24_dpp v41, v19, v68 row_newbcast:1 row_mask:0xf bank_mask:0xf// 0000000072D8: 105288FA FF015113
	v_mul_u32_u24_dpp v42, v19, v68 row_newbcast:5 row_mask:0xf bank_mask:0xf// 0000000072E0: 105488FA FF015513
	v_mul_u32_u24_dpp v43, v19, v68 row_newbcast:9 row_mask:0xf bank_mask:0xf// 0000000072E8: 105688FA FF015913
	v_mul_u32_u24_dpp v44, v19, v68 row_newbcast:13 row_mask:0xf bank_mask:0xf// 0000000072F0: 105888FA FF015D13
	v_add_u32_e32 v33, v41, v7                                 // 0000000072F8: 68420F29
	v_add_u32_e32 v34, v42, v7                                 // 0000000072FC: 68440F2A
	v_add_u32_e32 v35, v43, v7                                 // 000000007300: 68460F2B
	v_add_u32_e32 v36, v44, v7                                 // 000000007304: 68480F2C
	v_mul_f32_e32 v224, v63, v224                              // 000000007308: 0BC1C13F
	v_mul_f32_e32 v225, v63, v225                              // 00000000730C: 0BC3C33F
	v_mul_f32_e32 v226, v63, v226                              // 000000007310: 0BC5C53F
	v_mul_f32_e32 v227, v63, v227                              // 000000007314: 0BC7C73F
	v_mul_f32_e32 v228, v63, v228                              // 000000007318: 0BC9C93F
	v_mul_f32_e32 v229, v63, v229                              // 00000000731C: 0BCBCB3F
	v_mul_f32_e32 v230, v63, v230                              // 000000007320: 0BCDCD3F
	v_mul_f32_e32 v231, v63, v231                              // 000000007324: 0BCFCF3F
	s_waitcnt lgkmcnt(0)                                       // 000000007328: BF8CC07F
	s_barrier                                                  // 00000000732C: BF8A0000
	ds_read_b32 v80, v10 offset:16896                          // 000000007330: D86C4200 5000000A
	ds_read_b32 v81, v10 offset:16960                          // 000000007338: D86C4240 5100000A
	ds_read_b32 v82, v10 offset:17024                          // 000000007340: D86C4280 5200000A
	ds_read_b32 v83, v10 offset:17088                          // 000000007348: D86C42C0 5300000A
	ds_read_b32 v84, v10 offset:17152                          // 000000007350: D86C4300 5400000A
	ds_read_b32 v85, v10 offset:17216                          // 000000007358: D86C4340 5500000A
	ds_read_b32 v86, v10 offset:17280                          // 000000007360: D86C4380 5600000A
	ds_read_b32 v87, v10 offset:17344                          // 000000007368: D86C43C0 5700000A
	ds_read_b32 v88, v10 offset:17408                          // 000000007370: D86C4400 5800000A
	ds_read_b32 v89, v10 offset:17472                          // 000000007378: D86C4440 5900000A
	ds_read_b32 v90, v10 offset:17536                          // 000000007380: D86C4480 5A00000A
	ds_read_b32 v91, v10 offset:17600                          // 000000007388: D86C44C0 5B00000A
	ds_read_b32 v92, v10 offset:17664                          // 000000007390: D86C4500 5C00000A
	ds_read_b32 v93, v10 offset:17728                          // 000000007398: D86C4540 5D00000A
	ds_read_b32 v94, v10 offset:17792                          // 0000000073A0: D86C4580 5E00000A
	ds_read_b32 v95, v10 offset:17856                          // 0000000073A8: D86C45C0 5F00000A
	buffer_load_dwordx4 a[28:31], v28, s[16:19], 0 offen offset:1024// 0000000073B0: E05C1400 80841C1C
	v_cvt_f32_i32_e32 v192, v192                               // 0000000073B8: 7F800BC0
	v_cvt_f32_i32_e32 v193, v193                               // 0000000073BC: 7F820BC1
	v_cvt_f32_i32_e32 v194, v194                               // 0000000073C0: 7F840BC2
	v_cvt_f32_i32_e32 v195, v195                               // 0000000073C4: 7F860BC3
	v_cvt_f32_i32_e32 v196, v196                               // 0000000073C8: 7F880BC4
	v_cvt_f32_i32_e32 v197, v197                               // 0000000073CC: 7F8A0BC5
	v_cvt_f32_i32_e32 v198, v198                               // 0000000073D0: 7F8C0BC6
	v_cvt_f32_i32_e32 v199, v199                               // 0000000073D4: 7F8E0BC7
	v_mul_f32_e32 v192, v58, v192                              // 0000000073D8: 0B81813A
	v_mul_f32_e32 v193, v58, v193                              // 0000000073DC: 0B83833A
	v_mul_f32_e32 v194, v58, v194                              // 0000000073E0: 0B85853A
	v_mul_f32_e32 v195, v58, v195                              // 0000000073E4: 0B87873A
	v_mul_f32_e32 v196, v58, v196                              // 0000000073E8: 0B89893A
	v_mul_f32_e32 v197, v58, v197                              // 0000000073EC: 0B8B8B3A
	v_mul_f32_e32 v198, v58, v198                              // 0000000073F0: 0B8D8D3A
	v_mul_f32_e32 v199, v58, v199                              // 0000000073F4: 0B8F8F3A
	s_waitcnt lgkmcnt(0)                                       // 0000000073F8: BF8CC07F
	v_max3_f32 v62, v80, v81, v62                              // 0000000073FC: D1D3003E 04FAA350
	v_max3_f32 v62, v82, v83, v62                              // 000000007404: D1D3003E 04FAA752
	v_max3_f32 v62, v84, v85, v62                              // 00000000740C: D1D3003E 04FAAB54
	v_max3_f32 v62, v86, v87, v62                              // 000000007414: D1D3003E 04FAAF56
	v_max3_f32 v62, v88, v89, v62                              // 00000000741C: D1D3003E 04FAB358
	v_max3_f32 v62, v90, v91, v62                              // 000000007424: D1D3003E 04FAB75A
	v_max3_f32 v62, v92, v93, v62                              // 00000000742C: D1D3003E 04FABB5C
	v_max3_f32 v62, v94, v95, v62                              // 000000007434: D1D3003E 04FABF5E
	buffer_load_dwordx4 a[64:67], v33, s[20:23], 0 offen       // 00000000743C: E05C1000 80854021
	v_mov_b32_e32 v41, 0xff800000                              // 000000007444: 7E5202FF FF800000
	v_cmp_eq_u32_e64 s[40:41], v41, v14                        // 00000000744C: D0CA0028 00021D29
	s_nop 1                                                    // 000000007454: BF800001
	v_max_f32_e32 v18, v62, v14                                // 000000007458: 16241D3E
	v_mul_f32_e32 v67, s64, v18                                // 00000000745C: 0A862440
	v_fma_f32 v128, v128, s64, -v67                            // 000000007460: D1CB0080 850C8180
	v_fma_f32 v129, v129, s64, -v67                            // 000000007468: D1CB0081 850C8181
	v_fma_f32 v130, v130, s64, -v67                            // 000000007470: D1CB0082 850C8182
	v_fma_f32 v131, v131, s64, -v67                            // 000000007478: D1CB0083 850C8183
	v_fma_f32 v132, v132, s64, -v67                            // 000000007480: D1CB0084 850C8184
	v_fma_f32 v133, v133, s64, -v67                            // 000000007488: D1CB0085 850C8185
	v_fma_f32 v134, v134, s64, -v67                            // 000000007490: D1CB0086 850C8186
	v_fma_f32 v135, v135, s64, -v67                            // 000000007498: D1CB0087 850C8187
	v_fma_f32 v136, v136, s64, -v67                            // 0000000074A0: D1CB0088 850C8188
	v_fma_f32 v137, v137, s64, -v67                            // 0000000074A8: D1CB0089 850C8189
	v_fma_f32 v138, v138, s64, -v67                            // 0000000074B0: D1CB008A 850C818A
	v_fma_f32 v139, v139, s64, -v67                            // 0000000074B8: D1CB008B 850C818B
	v_fma_f32 v140, v140, s64, -v67                            // 0000000074C0: D1CB008C 850C818C
	v_fma_f32 v141, v141, s64, -v67                            // 0000000074C8: D1CB008D 850C818D
	v_fma_f32 v142, v142, s64, -v67                            // 0000000074D0: D1CB008E 850C818E
	v_fma_f32 v143, v143, s64, -v67                            // 0000000074D8: D1CB008F 850C818F
	buffer_load_dwordx4 a[68:71], v34, s[20:23], 0 offen       // 0000000074E0: E05C1000 80854422
	v_exp_f32_e32 v128, v128                                   // 0000000074E8: 7F004180
	v_exp_f32_e32 v129, v129                                   // 0000000074EC: 7F024181
	v_exp_f32_e32 v130, v130                                   // 0000000074F0: 7F044182
	v_exp_f32_e32 v131, v131                                   // 0000000074F4: 7F064183
	v_exp_f32_e32 v132, v132                                   // 0000000074F8: 7F084184
	v_exp_f32_e32 v133, v133                                   // 0000000074FC: 7F0A4185
	v_exp_f32_e32 v134, v134                                   // 000000007500: 7F0C4186
	v_exp_f32_e32 v135, v135                                   // 000000007504: 7F0E4187
	v_exp_f32_e32 v136, v136                                   // 000000007508: 7F104188
	v_exp_f32_e32 v137, v137                                   // 00000000750C: 7F124189
	v_exp_f32_e32 v138, v138                                   // 000000007510: 7F14418A
	v_exp_f32_e32 v139, v139                                   // 000000007514: 7F16418B
	v_exp_f32_e32 v140, v140                                   // 000000007518: 7F18418C
	v_exp_f32_e32 v141, v141                                   // 00000000751C: 7F1A418D
	v_exp_f32_e32 v142, v142                                   // 000000007520: 7F1C418E
	v_exp_f32_e32 v143, v143                                   // 000000007524: 7F1E418F
	buffer_load_dwordx4 a[72:75], v35, s[20:23], 0 offen       // 000000007528: E05C1000 80854823
	v_mul_f32_dpp v240, v252, v128 quad_perm:[0,0,0,0] row_mask:0xf bank_mask:0xf// 000000007530: 0BE100FA FF0000FC
	v_mul_f32_dpp v241, v252, v129 quad_perm:[1,1,1,1] row_mask:0xf bank_mask:0xf// 000000007538: 0BE302FA FF0055FC
	v_mul_f32_dpp v242, v252, v130 quad_perm:[2,2,2,2] row_mask:0xf bank_mask:0xf// 000000007540: 0BE504FA FF00AAFC
	v_mul_f32_dpp v243, v252, v131 quad_perm:[3,3,3,3] row_mask:0xf bank_mask:0xf// 000000007548: 0BE706FA FF00FFFC
	v_mul_f32_dpp v244, v253, v132 quad_perm:[0,0,0,0] row_mask:0xf bank_mask:0xf// 000000007550: 0BE908FA FF0000FD
	v_mul_f32_dpp v245, v253, v133 quad_perm:[1,1,1,1] row_mask:0xf bank_mask:0xf// 000000007558: 0BEB0AFA FF0055FD
	v_mul_f32_dpp v246, v253, v134 quad_perm:[2,2,2,2] row_mask:0xf bank_mask:0xf// 000000007560: 0BED0CFA FF00AAFD
	v_mul_f32_dpp v247, v253, v135 quad_perm:[3,3,3,3] row_mask:0xf bank_mask:0xf// 000000007568: 0BEF0EFA FF00FFFD
	v_mul_f32_dpp v248, v254, v136 quad_perm:[0,0,0,0] row_mask:0xf bank_mask:0xf// 000000007570: 0BF110FA FF0000FE
	v_mul_f32_dpp v249, v254, v137 quad_perm:[1,1,1,1] row_mask:0xf bank_mask:0xf// 000000007578: 0BF312FA FF0055FE
	v_mul_f32_dpp v250, v254, v138 quad_perm:[2,2,2,2] row_mask:0xf bank_mask:0xf// 000000007580: 0BF514FA FF00AAFE
	v_mul_f32_dpp v251, v254, v139 quad_perm:[3,3,3,3] row_mask:0xf bank_mask:0xf// 000000007588: 0BF716FA FF00FFFE
	v_mul_f32_dpp v252, v255, v140 quad_perm:[0,0,0,0] row_mask:0xf bank_mask:0xf// 000000007590: 0BF918FA FF0000FF
	v_mul_f32_dpp v253, v255, v141 quad_perm:[1,1,1,1] row_mask:0xf bank_mask:0xf// 000000007598: 0BFB1AFA FF0055FF
	v_mul_f32_dpp v254, v255, v142 quad_perm:[2,2,2,2] row_mask:0xf bank_mask:0xf// 0000000075A0: 0BFD1CFA FF00AAFF
	v_mul_f32_dpp v255, v255, v143 quad_perm:[3,3,3,3] row_mask:0xf bank_mask:0xf// 0000000075A8: 0BFF1EFA FF00FFFF
	v_mov_b32_e32 v62, 0x358637bd                              // 0000000075B0: 7E7C02FF 358637BD
	v_max3_f32 v62, |v240|, |v241|, v62                        // 0000000075B8: D1D3033E 04FBE3F0
	v_max3_f32 v62, |v242|, |v243|, v62                        // 0000000075C0: D1D3033E 04FBE7F2
	v_max3_f32 v62, |v244|, |v245|, v62                        // 0000000075C8: D1D3033E 04FBEBF4
	v_max3_f32 v62, |v246|, |v247|, v62                        // 0000000075D0: D1D3033E 04FBEFF6
	v_max3_f32 v62, |v248|, |v249|, v62                        // 0000000075D8: D1D3033E 04FBF3F8
	v_max3_f32 v62, |v250|, |v251|, v62                        // 0000000075E0: D1D3033E 04FBF7FA
	v_max3_f32 v62, |v252|, |v253|, v62                        // 0000000075E8: D1D3033E 04FBFBFC
	v_max3_f32 v62, |v254|, |v255|, v62                        // 0000000075F0: D1D3033E 04FBFFFE
	buffer_load_dwordx4 a[76:79], v36, s[20:23], 0 offen       // 0000000075F8: E05C1000 80854C24
	ds_write_b32 v11, v62 offset:20992                         // 000000007600: D81A5200 00003E0B
	v_sub_f32_e32 v63, v14, v18                                // 000000007608: 047E250E
	v_cndmask_b32_e64 v63, v63, 0, s[40:41]                    // 00000000760C: D100003F 00A1013F
	v_mov_b32_e32 v14, v18                                     // 000000007614: 7E1C0312
	v_mul_f32_e32 v63, s64, v63                                // 000000007618: 0A7E7E40
	v_exp_f32_e32 v63, v63                                     // 00000000761C: 7E7E413F
	s_waitcnt lgkmcnt(0)                                       // 000000007620: BF8CC07F
	s_barrier                                                  // 000000007624: BF8A0000
	ds_read_b32 v80, v10 offset:20992                          // 000000007628: D86C5200 5000000A
	ds_read_b32 v81, v10 offset:21056                          // 000000007630: D86C5240 5100000A
	ds_read_b32 v82, v10 offset:21120                          // 000000007638: D86C5280 5200000A
	ds_read_b32 v83, v10 offset:21184                          // 000000007640: D86C52C0 5300000A
	ds_read_b32 v84, v10 offset:21248                          // 000000007648: D86C5300 5400000A
	ds_read_b32 v85, v10 offset:21312                          // 000000007650: D86C5340 5500000A
	ds_read_b32 v86, v10 offset:21376                          // 000000007658: D86C5380 5600000A
	ds_read_b32 v87, v10 offset:21440                          // 000000007660: D86C53C0 5700000A
	ds_read_b32 v88, v10 offset:21504                          // 000000007668: D86C5400 5800000A
	ds_read_b32 v89, v10 offset:21568                          // 000000007670: D86C5440 5900000A
	ds_read_b32 v90, v10 offset:21632                          // 000000007678: D86C5480 5A00000A
	ds_read_b32 v91, v10 offset:21696                          // 000000007680: D86C54C0 5B00000A
	ds_read_b32 v92, v10 offset:21760                          // 000000007688: D86C5500 5C00000A
	ds_read_b32 v93, v10 offset:21824                          // 000000007690: D86C5540 5D00000A
	ds_read_b32 v94, v10 offset:21888                          // 000000007698: D86C5580 5E00000A
	ds_read_b32 v95, v10 offset:21952                          // 0000000076A0: D86C55C0 5F00000A
	v_mul_f32_e32 v47, v63, v47                                // 0000000076A8: 0A5E5F3F
	v_mov_b32_e32 v18, v128                                    // 0000000076AC: 7E240380
	v_add_f32_e32 v18, v129, v18                               // 0000000076B0: 02242581
	v_add_f32_e32 v18, v130, v18                               // 0000000076B4: 02242582
	v_add_f32_e32 v18, v131, v18                               // 0000000076B8: 02242583
	v_add_f32_e32 v18, v132, v18                               // 0000000076BC: 02242584
	v_add_f32_e32 v18, v133, v18                               // 0000000076C0: 02242585
	v_add_f32_e32 v18, v134, v18                               // 0000000076C4: 02242586
	v_add_f32_e32 v18, v135, v18                               // 0000000076C8: 02242587
	v_add_f32_e32 v18, v136, v18                               // 0000000076CC: 02242588
	v_add_f32_e32 v18, v137, v18                               // 0000000076D0: 02242589
	v_add_f32_e32 v18, v138, v18                               // 0000000076D4: 0224258A
	v_add_f32_e32 v18, v139, v18                               // 0000000076D8: 0224258B
	v_add_f32_e32 v18, v140, v18                               // 0000000076DC: 0224258C
	v_add_f32_e32 v18, v141, v18                               // 0000000076E0: 0224258D
	v_add_f32_e32 v18, v142, v18                               // 0000000076E4: 0224258E
	v_add_f32_e32 v18, v143, v18                               // 0000000076E8: 0224258F
	v_add_f32_e32 v47, v18, v47                                // 0000000076EC: 025E5F12
	s_waitcnt lgkmcnt(0)                                       // 0000000076F0: BF8CC07F
	v_max3_f32 v62, |v80|, |v81|, v62                          // 0000000076F4: D1D3033E 04FAA350
	v_max3_f32 v62, |v82|, |v83|, v62                          // 0000000076FC: D1D3033E 04FAA752
	v_max3_f32 v62, |v84|, |v85|, v62                          // 000000007704: D1D3033E 04FAAB54
	v_max3_f32 v62, |v86|, |v87|, v62                          // 00000000770C: D1D3033E 04FAAF56
	v_max3_f32 v62, |v88|, |v89|, v62                          // 000000007714: D1D3033E 04FAB358
	v_max3_f32 v62, |v90|, |v91|, v62                          // 00000000771C: D1D3033E 04FAB75A
	v_max3_f32 v62, |v92|, |v93|, v62                          // 000000007724: D1D3033E 04FABB5C
	v_max3_f32 v62, |v94|, |v95|, v62                          // 00000000772C: D1D3033E 04FABF5E
	s_nop 2                                                    // 000000007734: BF800002
	v_rcp_f32_e32 v62, v62                                     // 000000007738: 7E7C453E
	s_nop 1                                                    // 00000000773C: BF800001
	v_mul_f32_e32 v62, 0x42fe0000, v62                         // 000000007740: 0A7C7CFF 42FE0000
	v_mul_f32_e32 v128, v62, v240                              // 000000007748: 0B01E13E
	v_mul_f32_e32 v129, v62, v241                              // 00000000774C: 0B03E33E
	v_mul_f32_e32 v130, v62, v242                              // 000000007750: 0B05E53E
	v_mul_f32_e32 v131, v62, v243                              // 000000007754: 0B07E73E
	v_mul_f32_e32 v132, v62, v244                              // 000000007758: 0B09E93E
	v_mul_f32_e32 v133, v62, v245                              // 00000000775C: 0B0BEB3E
	v_mul_f32_e32 v134, v62, v246                              // 000000007760: 0B0DED3E
	v_mul_f32_e32 v135, v62, v247                              // 000000007764: 0B0FEF3E
	v_mul_f32_e32 v136, v62, v248                              // 000000007768: 0B11F13E
	v_mul_f32_e32 v137, v62, v249                              // 00000000776C: 0B13F33E
	v_mul_f32_e32 v138, v62, v250                              // 000000007770: 0B15F53E
	v_mul_f32_e32 v139, v62, v251                              // 000000007774: 0B17F73E
	v_mul_f32_e32 v140, v62, v252                              // 000000007778: 0B19F93E
	v_mul_f32_e32 v141, v62, v253                              // 00000000777C: 0B1BFB3E
	v_mul_f32_e32 v142, v62, v254                              // 000000007780: 0B1DFD3E
	v_mul_f32_e32 v143, v62, v255                              // 000000007784: 0B1FFF3E
	v_cvt_i32_f32_e32 v128, v128                               // 000000007788: 7F001180
	v_cvt_i32_f32_e32 v129, v129                               // 00000000778C: 7F021181
	v_cvt_i32_f32_e32 v130, v130                               // 000000007790: 7F041182
	v_cvt_i32_f32_e32 v131, v131                               // 000000007794: 7F061183
	v_cvt_i32_f32_e32 v132, v132                               // 000000007798: 7F081184
	v_cvt_i32_f32_e32 v133, v133                               // 00000000779C: 7F0A1185
	v_cvt_i32_f32_e32 v134, v134                               // 0000000077A0: 7F0C1186
	v_cvt_i32_f32_e32 v135, v135                               // 0000000077A4: 7F0E1187
	v_cvt_i32_f32_e32 v136, v136                               // 0000000077A8: 7F101188
	v_cvt_i32_f32_e32 v137, v137                               // 0000000077AC: 7F121189
	v_cvt_i32_f32_e32 v138, v138                               // 0000000077B0: 7F14118A
	v_cvt_i32_f32_e32 v139, v139                               // 0000000077B4: 7F16118B
	v_cvt_i32_f32_e32 v140, v140                               // 0000000077B8: 7F18118C
	v_cvt_i32_f32_e32 v141, v141                               // 0000000077BC: 7F1A118D
	v_cvt_i32_f32_e32 v142, v142                               // 0000000077C0: 7F1C118E
	v_cvt_i32_f32_e32 v143, v143                               // 0000000077C4: 7F1E118F
	v_perm_b32 v128, v129, v128, s53                           // 0000000077C8: D1ED0080 00D70181
	v_perm_b32 v128, v130, v128, s54                           // 0000000077D0: D1ED0080 00DB0182
	v_perm_b32 v128, v131, v128, s55                           // 0000000077D8: D1ED0080 00DF0183
	v_perm_b32 v129, v133, v132, s53                           // 0000000077E0: D1ED0081 00D70985
	v_perm_b32 v129, v134, v129, s54                           // 0000000077E8: D1ED0081 00DB0386
	v_perm_b32 v129, v135, v129, s55                           // 0000000077F0: D1ED0081 00DF0387
	v_perm_b32 v130, v137, v136, s53                           // 0000000077F8: D1ED0082 00D71189
	v_perm_b32 v130, v138, v130, s54                           // 000000007800: D1ED0082 00DB058A
	v_perm_b32 v130, v139, v130, s55                           // 000000007808: D1ED0082 00DF058B
	v_perm_b32 v131, v141, v140, s53                           // 000000007810: D1ED0083 00D7198D
	v_perm_b32 v131, v142, v131, s54                           // 000000007818: D1ED0083 00DB078E
	v_perm_b32 v131, v143, v131, s55                           // 000000007820: D1ED0083 00DF078F
	ds_write_b32 v13, v128 offset:25088                        // 000000007828: D81A6200 0000800D
	ds_write_b32 v13, v129 offset:26112                        // 000000007830: D81A6600 0000810D
	ds_write_b32 v13, v130 offset:27136                        // 000000007838: D81A6A00 0000820D
	ds_write_b32 v13, v131 offset:28160                        // 000000007840: D81A6E00 0000830D
	v_add_f32_e32 v224, v224, v192                             // 000000007848: 03C181E0
	v_add_f32_e32 v225, v225, v193                             // 00000000784C: 03C383E1
	v_add_f32_e32 v226, v226, v194                             // 000000007850: 03C585E2
	v_add_f32_e32 v227, v227, v195                             // 000000007854: 03C787E3
	v_add_f32_e32 v228, v228, v196                             // 000000007858: 03C989E4
	v_add_f32_e32 v229, v229, v197                             // 00000000785C: 03CB8BE5
	v_add_f32_e32 v230, v230, v198                             // 000000007860: 03CD8DE6
	v_add_f32_e32 v231, v231, v199                             // 000000007864: 03CF8FE7
	v_rcp_f32_e32 v58, v62                                     // 000000007868: 7E74453E
	s_waitcnt lgkmcnt(0)                                       // 00000000786C: BF8CC07F
	s_barrier                                                  // 000000007870: BF8A0000
	ds_read_b64 v[128:129], v12 offset:25088                   // 000000007874: D8EC6200 8000000C
	ds_read_b64 v[130:131], v12 offset:25216                   // 00000000787C: D8EC6280 8200000C
	ds_read_b64 v[132:133], v12 offset:26112                   // 000000007884: D8EC6600 8400000C
	ds_read_b64 v[134:135], v12 offset:26240                   // 00000000788C: D8EC6680 8600000C
	ds_read_b64 v[136:137], v12 offset:27136                   // 000000007894: D8EC6A00 8800000C
	ds_read_b64 v[138:139], v12 offset:27264                   // 00000000789C: D8EC6A80 8A00000C
	ds_read_b64 v[140:141], v12 offset:28160                   // 0000000078A4: D8EC6E00 8C00000C
	ds_read_b64 v[142:143], v12 offset:28288                   // 0000000078AC: D8EC6E80 8E00000C
	s_waitcnt vmcnt(15)                                        // 0000000078B4: BF8C0F7F
	s_waitcnt lgkmcnt(7)                                       // 0000000078B8: BF8CC77F
	v_mfma_i32_16x16x32_i8 v[192:195], a[96:97], v[128:129], 0 // 0000000078BC: D3D700C0 0A030160
	s_waitcnt lgkmcnt(6)                                       // 0000000078C4: BF8CC67F
	v_mfma_i32_16x16x32_i8 v[192:195], a[98:99], v[130:131], v[192:195]// 0000000078C8: D3D700C0 0F030562
	buffer_load_dwordx4 a[80:83], v33, s[20:23], 0 offen offset:1024// 0000000078D0: E05C1400 80855021
	s_waitcnt lgkmcnt(5)                                       // 0000000078D8: BF8CC57F
	v_mfma_i32_16x16x32_i8 v[192:195], a[100:101], v[132:133], v[192:195]// 0000000078DC: D3D700C0 0F030964
	s_waitcnt lgkmcnt(4)                                       // 0000000078E4: BF8CC47F
	v_mfma_i32_16x16x32_i8 v[192:195], a[102:103], v[134:135], v[192:195]// 0000000078E8: D3D700C0 0F030D66
	s_waitcnt lgkmcnt(3)                                       // 0000000078F0: BF8CC37F
	v_mfma_i32_16x16x32_i8 v[192:195], a[104:105], v[136:137], v[192:195]// 0000000078F4: D3D700C0 0F031168
	s_waitcnt lgkmcnt(2)                                       // 0000000078FC: BF8CC27F
	v_mfma_i32_16x16x32_i8 v[192:195], a[106:107], v[138:139], v[192:195]// 000000007900: D3D700C0 0F03156A
	buffer_load_dwordx4 a[84:87], v34, s[20:23], 0 offen offset:1024// 000000007908: E05C1400 80855422
	s_waitcnt lgkmcnt(1)                                       // 000000007910: BF8CC17F
	v_mfma_i32_16x16x32_i8 v[192:195], a[108:109], v[140:141], v[192:195]// 000000007914: D3D700C0 0F03196C
	s_waitcnt lgkmcnt(0)                                       // 00000000791C: BF8CC07F
	v_mfma_i32_16x16x32_i8 v[192:195], a[110:111], v[142:143], v[192:195]// 000000007920: D3D700C0 0F031D6E
	v_mfma_i32_16x16x32_i8 v[196:199], a[112:113], v[128:129], 0// 000000007928: D3D700C4 0A030170
	v_mfma_i32_16x16x32_i8 v[196:199], a[114:115], v[130:131], v[196:199]// 000000007930: D3D700C4 0F130572
	buffer_load_dwordx4 a[88:91], v35, s[20:23], 0 offen offset:1024// 000000007938: E05C1400 80855823
	v_mfma_i32_16x16x32_i8 v[196:199], a[116:117], v[132:133], v[196:199]// 000000007940: D3D700C4 0F130974
	v_mfma_i32_16x16x32_i8 v[196:199], a[118:119], v[134:135], v[196:199]// 000000007948: D3D700C4 0F130D76
	v_mfma_i32_16x16x32_i8 v[196:199], a[120:121], v[136:137], v[196:199]// 000000007950: D3D700C4 0F131178
	v_mfma_i32_16x16x32_i8 v[196:199], a[122:123], v[138:139], v[196:199]// 000000007958: D3D700C4 0F13157A
	buffer_load_dwordx4 a[92:95], v36, s[20:23], 0 offen offset:1024// 000000007960: E05C1400 80855C24
	v_mfma_i32_16x16x32_i8 v[196:199], a[124:125], v[140:141], v[196:199]// 000000007968: D3D700C4 0F13197C
	s_lshr_b32 s57, s70, 4                                     // 000000007970: 8F398446
	s_add_u32 s57, 48, s57                                     // 000000007974: 803939B0
	v_mfma_i32_16x16x32_i8 v[196:199], a[126:127], v[142:143], v[196:199]// 000000007978: D3D700C4 0F131D7E
	s_cmp_ge_u32 s57, s73                                      // 000000007980: BF094939
	s_cselect_b32 s56, 0, s56                                  // 000000007984: 85383880
	v_add_u32_e32 v1, s56, v1                                  // 000000007988: 68020238
	s_addk_i32 s70, 0x100                                      // 00000000798C: B7460100
	s_cmp_lt_i32 s70, s71                                      // 000000007990: BF044746
	s_cbranch_scc0 label_15E7                                  // 000000007994: BF840001
	s_branch label_0FFE                                        // 000000007998: BF82FA17

000000000000799c <label_15E7>:
	s_nop 0                                                    // 00000000799C: BF800000
	s_nop 0                                                    // 0000000079A0: BF800000
	s_branch label_1BD3                                        // 0000000079A4: BF8205E9

00000000000079a8 <label_15EA>:
	s_waitcnt vmcnt(8) lgkmcnt(0)                              // 0000000079A8: BF8C0078
	v_mul_u32_u24_dpp v41, v20, v68 row_newbcast:0 row_mask:0xf bank_mask:0xf// 0000000079AC: 105288FA FF015014
	v_mul_u32_u24_dpp v42, v20, v68 row_newbcast:4 row_mask:0xf bank_mask:0xf// 0000000079B4: 105488FA FF015414
	v_mul_u32_u24_dpp v43, v20, v68 row_newbcast:8 row_mask:0xf bank_mask:0xf// 0000000079BC: 105688FA FF015814
	v_mul_u32_u24_dpp v44, v20, v68 row_newbcast:12 row_mask:0xf bank_mask:0xf// 0000000079C4: 105888FA FF015C14
	v_add_u32_e32 v29, v41, v6                                 // 0000000079CC: 683A0D29
	v_add_u32_e32 v30, v42, v6                                 // 0000000079D0: 683C0D2A
	v_add_u32_e32 v31, v43, v6                                 // 0000000079D4: 683E0D2B
	v_add_u32_e32 v32, v44, v6                                 // 0000000079D8: 68400D2C
	v_mul_u32_u24_dpp v41, v20, v78 quad_perm:[0,0,0,0] row_mask:0xf bank_mask:0xf// 0000000079DC: 10529CFA FF000014
	v_add_u32_e32 v3, v41, v74                                 // 0000000079E4: 68069529
	v_mul_u32_u24_dpp v41, v20, v78 quad_perm:[0,0,0,0] row_mask:0xf bank_mask:0xf// 0000000079E8: 10529CFA FF000014
	v_add_u32_e32 v71, v41, v75                                // 0000000079F0: 688E9729
	v_mfma_i32_16x16x32_i8 v[128:131], a[0:1], v[96:97], 0     // 0000000079F4: D3D70080 0A02C100
	buffer_load_dwordx4 a[32:35], v29, s[16:19], 0 offen       // 0000000079FC: E05C1000 8084201D
	v_mfma_i32_16x16x32_i8 v[128:131], a[2:3], v[98:99], v[128:131]// 000000007A04: D3D70080 0E02C502
	v_mfma_i32_16x16x32_i8 v[128:131], a[4:5], v[100:101], v[128:131]// 000000007A0C: D3D70080 0E02C904
	buffer_load_dword v19, v1, s[24:27], 0 offen               // 000000007A14: E0501000 80061301
	v_mfma_i32_16x16x32_i8 v[128:131], a[6:7], v[102:103], v[128:131]// 000000007A1C: D3D70080 0E02CD06
	v_mfma_i32_16x16x32_i8 v[132:135], a[8:9], v[96:97], 0     // 000000007A24: D3D70084 0A02C108
	buffer_load_dwordx4 a[36:39], v29, s[16:19], 0 offen offset:1024// 000000007A2C: E05C1400 8084241D
	v_mfma_i32_16x16x32_i8 v[132:135], a[10:11], v[98:99], v[132:135]// 000000007A34: D3D70084 0E12C50A
	v_mfma_i32_16x16x32_i8 v[132:135], a[12:13], v[100:101], v[132:135]// 000000007A3C: D3D70084 0E12C90C
	v_mfma_i32_16x16x32_i8 v[132:135], a[14:15], v[102:103], v[132:135]// 000000007A44: D3D70084 0E12CD0E
	v_mfma_i32_16x16x32_i8 v[136:139], a[16:17], v[96:97], 0   // 000000007A4C: D3D70088 0A02C110
	buffer_load_dwordx4 a[40:43], v30, s[16:19], 0 offen       // 000000007A54: E05C1000 8084281E
	v_mfma_i32_16x16x32_i8 v[136:139], a[18:19], v[98:99], v[136:139]// 000000007A5C: D3D70088 0E22C512
	v_mfma_i32_16x16x32_i8 v[136:139], a[20:21], v[100:101], v[136:139]// 000000007A64: D3D70088 0E22C914
	v_mfma_i32_16x16x32_i8 v[136:139], a[22:23], v[102:103], v[136:139]// 000000007A6C: D3D70088 0E22CD16
	v_mfma_i32_16x16x32_i8 v[140:143], a[24:25], v[96:97], 0   // 000000007A74: D3D7008C 0A02C118
	buffer_load_dwordx4 a[44:47], v30, s[16:19], 0 offen offset:1024// 000000007A7C: E05C1400 80842C1E
	v_mfma_i32_16x16x32_i8 v[140:143], a[26:27], v[98:99], v[140:143]// 000000007A84: D3D7008C 0E32C51A
	v_mfma_i32_16x16x32_i8 v[140:143], a[28:29], v[100:101], v[140:143]// 000000007A8C: D3D7008C 0E32C91C
	v_mfma_i32_16x16x32_i8 v[140:143], a[30:31], v[102:103], v[140:143]// 000000007A94: D3D7008C 0E32CD1E
	buffer_load_dword v53, v3, s[32:35], 0 offen               // 000000007A9C: E0501000 80083503
	v_mov_b32_dpp v41, v52 row_shr:4 row_mask:0xf bank_mask:0xf// 000000007AA4: 7E5202FA FF011434
	v_mov_b32_dpp v42, v52 row_shl:4 row_mask:0xf bank_mask:0xf// 000000007AAC: 7E5402FA FF010434
	v_cndmask_b32_e64 v248, v52, v41, s[44:45]                 // 000000007AB4: D10000F8 00B25334
	v_cndmask_b32_e64 v249, v42, v52, s[44:45]                 // 000000007ABC: D10000F9 00B2692A
	v_mov_b32_dpp v41, v248 row_shr:8 row_mask:0xf bank_mask:0xf// 000000007AC4: 7E5202FA FF0118F8
	v_mov_b32_dpp v42, v248 row_shl:8 row_mask:0xf bank_mask:0xf// 000000007ACC: 7E5402FA FF0108F8
	v_mov_b32_dpp v43, v249 row_shr:8 row_mask:0xf bank_mask:0xf// 000000007AD4: 7E5602FA FF0118F9
	v_mov_b32_dpp v44, v249 row_shl:8 row_mask:0xf bank_mask:0xf// 000000007ADC: 7E5802FA FF0108F9
	v_mov_b32_e32 v45, v248                                    // 000000007AE4: 7E5A03F8
	v_mov_b32_e32 v46, v249                                    // 000000007AE8: 7E5C03F9
	v_cndmask_b32_e64 v248, v45, v41, s[42:43]                 // 000000007AEC: D10000F8 00AA532D
	v_cndmask_b32_e64 v250, v45, v42, s[78:79]                 // 000000007AF4: D10000FA 013A552D
	v_cndmask_b32_e64 v249, v46, v43, s[42:43]                 // 000000007AFC: D10000F9 00AA572E
	v_cndmask_b32_e64 v251, v46, v44, s[78:79]                 // 000000007B04: D10000FB 013A592E
	v_mov_b32_dpp v41, v72 row_shr:4 row_mask:0xf bank_mask:0xf// 000000007B0C: 7E5202FA FF011448
	v_mov_b32_dpp v42, v72 row_shl:4 row_mask:0xf bank_mask:0xf// 000000007B14: 7E5402FA FF010448
	v_cndmask_b32_e64 v252, v72, v41, s[44:45]                 // 000000007B1C: D10000FC 00B25348
	v_cndmask_b32_e64 v253, v42, v72, s[44:45]                 // 000000007B24: D10000FD 00B2912A
	v_mov_b32_dpp v41, v252 row_shr:8 row_mask:0xf bank_mask:0xf// 000000007B2C: 7E5202FA FF0118FC
	v_mov_b32_dpp v42, v252 row_shl:8 row_mask:0xf bank_mask:0xf// 000000007B34: 7E5402FA FF0108FC
	v_mov_b32_dpp v43, v253 row_shr:8 row_mask:0xf bank_mask:0xf// 000000007B3C: 7E5602FA FF0118FD
	v_mov_b32_dpp v44, v253 row_shl:8 row_mask:0xf bank_mask:0xf// 000000007B44: 7E5802FA FF0108FD
	v_mov_b32_e32 v45, v252                                    // 000000007B4C: 7E5A03FC
	v_mov_b32_e32 v46, v253                                    // 000000007B50: 7E5C03FD
	v_cndmask_b32_e64 v252, v45, v41, s[42:43]                 // 000000007B54: D10000FC 00AA532D
	v_cndmask_b32_e64 v254, v45, v42, s[78:79]                 // 000000007B5C: D10000FE 013A552D
	v_cndmask_b32_e64 v253, v46, v43, s[42:43]                 // 000000007B64: D10000FD 00AA572E
	v_cndmask_b32_e64 v255, v46, v44, s[78:79]                 // 000000007B6C: D10000FF 013A592E
	buffer_load_dword v73, v71, s[36:39], 0 offen              // 000000007B74: E0501000 80094947
	v_cvt_f32_i32_e32 v128, v128                               // 000000007B7C: 7F000B80
	v_cvt_f32_i32_e32 v129, v129                               // 000000007B80: 7F020B81
	v_cvt_f32_i32_e32 v130, v130                               // 000000007B84: 7F040B82
	v_cvt_f32_i32_e32 v131, v131                               // 000000007B88: 7F060B83
	v_cvt_f32_i32_e32 v132, v132                               // 000000007B8C: 7F080B84
	v_cvt_f32_i32_e32 v133, v133                               // 000000007B90: 7F0A0B85
	v_cvt_f32_i32_e32 v134, v134                               // 000000007B94: 7F0C0B86
	v_cvt_f32_i32_e32 v135, v135                               // 000000007B98: 7F0E0B87
	v_cvt_f32_i32_e32 v136, v136                               // 000000007B9C: 7F100B88
	v_cvt_f32_i32_e32 v137, v137                               // 000000007BA0: 7F120B89
	v_cvt_f32_i32_e32 v138, v138                               // 000000007BA4: 7F140B8A
	v_cvt_f32_i32_e32 v139, v139                               // 000000007BA8: 7F160B8B
	v_cvt_f32_i32_e32 v140, v140                               // 000000007BAC: 7F180B8C
	v_cvt_f32_i32_e32 v141, v141                               // 000000007BB0: 7F1A0B8D
	v_cvt_f32_i32_e32 v142, v142                               // 000000007BB4: 7F1C0B8E
	v_cvt_f32_i32_e32 v143, v143                               // 000000007BB8: 7F1E0B8F
	v_mul_f32_e32 v128, v54, v128                              // 000000007BBC: 0B010136
	v_mul_f32_e32 v129, v54, v129                              // 000000007BC0: 0B030336
	v_mul_f32_e32 v130, v54, v130                              // 000000007BC4: 0B050536
	v_mul_f32_e32 v131, v54, v131                              // 000000007BC8: 0B070736
	v_mul_f32_e32 v132, v54, v132                              // 000000007BCC: 0B090936
	v_mul_f32_e32 v133, v54, v133                              // 000000007BD0: 0B0B0B36
	v_mul_f32_e32 v134, v54, v134                              // 000000007BD4: 0B0D0D36
	v_mul_f32_e32 v135, v54, v135                              // 000000007BD8: 0B0F0F36
	v_mul_f32_e32 v136, v54, v136                              // 000000007BDC: 0B111136
	v_mul_f32_e32 v137, v54, v137                              // 000000007BE0: 0B131336
	v_mul_f32_e32 v138, v54, v138                              // 000000007BE4: 0B151536
	v_mul_f32_e32 v139, v54, v139                              // 000000007BE8: 0B171736
	v_mul_f32_e32 v140, v54, v140                              // 000000007BEC: 0B191936
	v_mul_f32_e32 v141, v54, v141                              // 000000007BF0: 0B1B1B36
	v_mul_f32_e32 v142, v54, v142                              // 000000007BF4: 0B1D1D36
	v_mul_f32_e32 v143, v54, v143                              // 000000007BF8: 0B1F1F36
	buffer_load_dwordx4 a[48:51], v31, s[16:19], 0 offen       // 000000007BFC: E05C1000 8084301F
	v_mul_f32_dpp v128, v248, v128 quad_perm:[0,0,0,0] row_mask:0xf bank_mask:0xf// 000000007C04: 0B0100FA FF0000F8
	v_mul_f32_dpp v129, v248, v129 quad_perm:[1,1,1,1] row_mask:0xf bank_mask:0xf// 000000007C0C: 0B0302FA FF0055F8
	v_mul_f32_dpp v130, v248, v130 quad_perm:[2,2,2,2] row_mask:0xf bank_mask:0xf// 000000007C14: 0B0504FA FF00AAF8
	v_mul_f32_dpp v131, v248, v131 quad_perm:[3,3,3,3] row_mask:0xf bank_mask:0xf// 000000007C1C: 0B0706FA FF00FFF8
	v_mul_f32_dpp v132, v249, v132 quad_perm:[0,0,0,0] row_mask:0xf bank_mask:0xf// 000000007C24: 0B0908FA FF0000F9
	v_mul_f32_dpp v133, v249, v133 quad_perm:[1,1,1,1] row_mask:0xf bank_mask:0xf// 000000007C2C: 0B0B0AFA FF0055F9
	v_mul_f32_dpp v134, v249, v134 quad_perm:[2,2,2,2] row_mask:0xf bank_mask:0xf// 000000007C34: 0B0D0CFA FF00AAF9
	v_mul_f32_dpp v135, v249, v135 quad_perm:[3,3,3,3] row_mask:0xf bank_mask:0xf// 000000007C3C: 0B0F0EFA FF00FFF9
	v_mul_f32_dpp v136, v250, v136 quad_perm:[0,0,0,0] row_mask:0xf bank_mask:0xf// 000000007C44: 0B1110FA FF0000FA
	v_mul_f32_dpp v137, v250, v137 quad_perm:[1,1,1,1] row_mask:0xf bank_mask:0xf// 000000007C4C: 0B1312FA FF0055FA
	v_mul_f32_dpp v138, v250, v138 quad_perm:[2,2,2,2] row_mask:0xf bank_mask:0xf// 000000007C54: 0B1514FA FF00AAFA
	v_mul_f32_dpp v139, v250, v139 quad_perm:[3,3,3,3] row_mask:0xf bank_mask:0xf// 000000007C5C: 0B1716FA FF00FFFA
	v_mul_f32_dpp v140, v251, v140 quad_perm:[0,0,0,0] row_mask:0xf bank_mask:0xf// 000000007C64: 0B1918FA FF0000FB
	v_mul_f32_dpp v141, v251, v141 quad_perm:[1,1,1,1] row_mask:0xf bank_mask:0xf// 000000007C6C: 0B1B1AFA FF0055FB
	v_mul_f32_dpp v142, v251, v142 quad_perm:[2,2,2,2] row_mask:0xf bank_mask:0xf// 000000007C74: 0B1D1CFA FF00AAFB
	v_mul_f32_dpp v143, v251, v143 quad_perm:[3,3,3,3] row_mask:0xf bank_mask:0xf// 000000007C7C: 0B1F1EFA FF00FFFB
	buffer_load_dwordx4 a[52:55], v31, s[16:19], 0 offen offset:1024// 000000007C84: E05C1400 8084341F
	s_cmp_le_i32 s90, s89                                      // 000000007C8C: BF05595A
	s_cbranch_scc1 label_1718                                  // 000000007C90: BF850073
	v_mov_b32_e32 v69, 0xff800000                              // 000000007C94: 7E8A02FF FF800000
	s_mov_b32 s60, s90                                         // 000000007C9C: BEBC005A
	s_add_u32 s61, s89, 0xff                                   // 000000007CA0: 803DFF59 000000FF
	v_mov_b32_e32 v41, s61                                     // 000000007CA8: 7E52023D
	v_lshrrev_b32_e32 v240, 4, v0                              // 000000007CAC: 21E00084
	v_mul_i32_i24_e32 v240, 4, v240                            // 000000007CB0: 0DE1E084
	v_add_u32_e32 v240, s60, v240                              // 000000007CB4: 69E1E03C
	v_and_b32_e32 v42, 15, v0                                  // 000000007CB8: 2654008F
	v_lshrrev_b32_e32 v42, 3, v42                              // 000000007CBC: 20545483
	s_mov_b32 s61, 0                                           // 000000007CC0: BEBD0080
	s_mul_i32 s60, 16, s7                                      // 000000007CC4: 923C0790
	v_add_u32_e32 v42, s61, v42                                // 000000007CC8: 6854543D
	v_sub_u32_e32 v240, v240, v42                              // 000000007CCC: 6BE055F0
	v_add_u32_e32 v240, s60, v240                              // 000000007CD0: 69E1E03C
	v_add_u32_e32 v241, 1, v240                                // 000000007CD4: 69E3E081
	v_add_u32_e32 v242, 2, v240                                // 000000007CD8: 69E5E082
	v_add_u32_e32 v243, 3, v240                                // 000000007CDC: 69E7E083
	v_cmp_le_u32_e64 s[40:41], v240, v41                       // 000000007CE0: D0CB0028 000253F0
	v_add_u32_e32 v240, 64, v240                               // 000000007CE8: 69E1E0C0
	s_nop 0                                                    // 000000007CEC: BF800000
	v_cndmask_b32_e64 v128, v69, v128, s[40:41]                // 000000007CF0: D1000080 00A30145
	v_cmp_le_u32_e64 s[40:41], v241, v41                       // 000000007CF8: D0CB0028 000253F1
	v_add_u32_e32 v241, 64, v241                               // 000000007D00: 69E3E2C0
	s_nop 0                                                    // 000000007D04: BF800000
	v_cndmask_b32_e64 v129, v69, v129, s[40:41]                // 000000007D08: D1000081 00A30345
	v_cmp_le_u32_e64 s[40:41], v242, v41                       // 000000007D10: D0CB0028 000253F2
	v_add_u32_e32 v242, 64, v242                               // 000000007D18: 69E5E4C0
	s_nop 0                                                    // 000000007D1C: BF800000
	v_cndmask_b32_e64 v130, v69, v130, s[40:41]                // 000000007D20: D1000082 00A30545
	v_cmp_le_u32_e64 s[40:41], v243, v41                       // 000000007D28: D0CB0028 000253F3
	v_add_u32_e32 v243, 64, v243                               // 000000007D30: 69E7E6C0
	s_nop 0                                                    // 000000007D34: BF800000
	v_cndmask_b32_e64 v131, v69, v131, s[40:41]                // 000000007D38: D1000083 00A30745
	v_cmp_le_u32_e64 s[40:41], v240, v41                       // 000000007D40: D0CB0028 000253F0
	v_add_u32_e32 v240, 64, v240                               // 000000007D48: 69E1E0C0
	s_nop 0                                                    // 000000007D4C: BF800000
	v_cndmask_b32_e64 v132, v69, v132, s[40:41]                // 000000007D50: D1000084 00A30945
	v_cmp_le_u32_e64 s[40:41], v241, v41                       // 000000007D58: D0CB0028 000253F1
	v_add_u32_e32 v241, 64, v241                               // 000000007D60: 69E3E2C0
	s_nop 0                                                    // 000000007D64: BF800000
	v_cndmask_b32_e64 v133, v69, v133, s[40:41]                // 000000007D68: D1000085 00A30B45
	v_cmp_le_u32_e64 s[40:41], v242, v41                       // 000000007D70: D0CB0028 000253F2
	v_add_u32_e32 v242, 64, v242                               // 000000007D78: 69E5E4C0
	s_nop 0                                                    // 000000007D7C: BF800000
	v_cndmask_b32_e64 v134, v69, v134, s[40:41]                // 000000007D80: D1000086 00A30D45
	v_cmp_le_u32_e64 s[40:41], v243, v41                       // 000000007D88: D0CB0028 000253F3
	v_add_u32_e32 v243, 64, v243                               // 000000007D90: 69E7E6C0
	s_nop 0                                                    // 000000007D94: BF800000
	v_cndmask_b32_e64 v135, v69, v135, s[40:41]                // 000000007D98: D1000087 00A30F45
	v_cmp_le_u32_e64 s[40:41], v240, v41                       // 000000007DA0: D0CB0028 000253F0
	v_add_u32_e32 v240, 64, v240                               // 000000007DA8: 69E1E0C0
	s_nop 0                                                    // 000000007DAC: BF800000
	v_cndmask_b32_e64 v136, v69, v136, s[40:41]                // 000000007DB0: D1000088 00A31145
	v_cmp_le_u32_e64 s[40:41], v241, v41                       // 000000007DB8: D0CB0028 000253F1
	v_add_u32_e32 v241, 64, v241                               // 000000007DC0: 69E3E2C0
	s_nop 0                                                    // 000000007DC4: BF800000
	v_cndmask_b32_e64 v137, v69, v137, s[40:41]                // 000000007DC8: D1000089 00A31345
	v_cmp_le_u32_e64 s[40:41], v242, v41                       // 000000007DD0: D0CB0028 000253F2
	v_add_u32_e32 v242, 64, v242                               // 000000007DD8: 69E5E4C0
	s_nop 0                                                    // 000000007DDC: BF800000
	v_cndmask_b32_e64 v138, v69, v138, s[40:41]                // 000000007DE0: D100008A 00A31545
	v_cmp_le_u32_e64 s[40:41], v243, v41                       // 000000007DE8: D0CB0028 000253F3
	v_add_u32_e32 v243, 64, v243                               // 000000007DF0: 69E7E6C0
	s_nop 0                                                    // 000000007DF4: BF800000
	v_cndmask_b32_e64 v139, v69, v139, s[40:41]                // 000000007DF8: D100008B 00A31745
	v_cmp_le_u32_e64 s[40:41], v240, v41                       // 000000007E00: D0CB0028 000253F0
	v_add_u32_e32 v240, 64, v240                               // 000000007E08: 69E1E0C0
	s_nop 0                                                    // 000000007E0C: BF800000
	v_cndmask_b32_e64 v140, v69, v140, s[40:41]                // 000000007E10: D100008C 00A31945
	v_cmp_le_u32_e64 s[40:41], v241, v41                       // 000000007E18: D0CB0028 000253F1
	v_add_u32_e32 v241, 64, v241                               // 000000007E20: 69E3E2C0
	s_nop 0                                                    // 000000007E24: BF800000
	v_cndmask_b32_e64 v141, v69, v141, s[40:41]                // 000000007E28: D100008D 00A31B45
	v_cmp_le_u32_e64 s[40:41], v242, v41                       // 000000007E30: D0CB0028 000253F2
	v_add_u32_e32 v242, 64, v242                               // 000000007E38: 69E5E4C0
	s_nop 0                                                    // 000000007E3C: BF800000
	v_cndmask_b32_e64 v142, v69, v142, s[40:41]                // 000000007E40: D100008E 00A31D45
	v_cmp_le_u32_e64 s[40:41], v243, v41                       // 000000007E48: D0CB0028 000253F3
	v_add_u32_e32 v243, 64, v243                               // 000000007E50: 69E7E6C0
	s_nop 0                                                    // 000000007E54: BF800000
	v_cndmask_b32_e64 v143, v69, v143, s[40:41]                // 000000007E58: D100008F 00A31F45

0000000000007e60 <label_1718>:
	s_add_u32 s90, s91, s90                                    // 000000007E60: 805A5A5B
	v_mov_b32_e32 v62, v128                                    // 000000007E64: 7E7C0380
	v_max3_f32 v62, v128, v129, v62                            // 000000007E68: D1D3003E 04FB0380
	v_max3_f32 v62, v130, v131, v62                            // 000000007E70: D1D3003E 04FB0782
	v_max3_f32 v62, v132, v133, v62                            // 000000007E78: D1D3003E 04FB0B84
	v_max3_f32 v62, v134, v135, v62                            // 000000007E80: D1D3003E 04FB0F86
	v_max3_f32 v62, v136, v137, v62                            // 000000007E88: D1D3003E 04FB1388
	v_max3_f32 v62, v138, v139, v62                            // 000000007E90: D1D3003E 04FB178A
	v_max3_f32 v62, v140, v141, v62                            // 000000007E98: D1D3003E 04FB1B8C
	v_max3_f32 v62, v142, v143, v62                            // 000000007EA0: D1D3003E 04FB1F8E
	ds_write_b32 v11, v62 offset:16896                         // 000000007EA8: D81A4200 00003E0B
	buffer_load_dwordx4 a[56:59], v32, s[16:19], 0 offen       // 000000007EB0: E05C1000 80843820
	v_mul_u32_u24_dpp v41, v20, v68 row_newbcast:1 row_mask:0xf bank_mask:0xf// 000000007EB8: 105288FA FF015114
	v_mul_u32_u24_dpp v42, v20, v68 row_newbcast:5 row_mask:0xf bank_mask:0xf// 000000007EC0: 105488FA FF015514
	v_mul_u32_u24_dpp v43, v20, v68 row_newbcast:9 row_mask:0xf bank_mask:0xf// 000000007EC8: 105688FA FF015914
	v_mul_u32_u24_dpp v44, v20, v68 row_newbcast:13 row_mask:0xf bank_mask:0xf// 000000007ED0: 105888FA FF015D14
	v_add_u32_e32 v37, v41, v7                                 // 000000007ED8: 684A0F29
	v_add_u32_e32 v38, v42, v7                                 // 000000007EDC: 684C0F2A
	v_add_u32_e32 v39, v43, v7                                 // 000000007EE0: 684E0F2B
	v_add_u32_e32 v40, v44, v7                                 // 000000007EE4: 68500F2C
	v_mul_f32_e32 v224, v63, v224                              // 000000007EE8: 0BC1C13F
	v_mul_f32_e32 v225, v63, v225                              // 000000007EEC: 0BC3C33F
	v_mul_f32_e32 v226, v63, v226                              // 000000007EF0: 0BC5C53F
	v_mul_f32_e32 v227, v63, v227                              // 000000007EF4: 0BC7C73F
	v_mul_f32_e32 v228, v63, v228                              // 000000007EF8: 0BC9C93F
	v_mul_f32_e32 v229, v63, v229                              // 000000007EFC: 0BCBCB3F
	v_mul_f32_e32 v230, v63, v230                              // 000000007F00: 0BCDCD3F
	v_mul_f32_e32 v231, v63, v231                              // 000000007F04: 0BCFCF3F
	s_waitcnt lgkmcnt(0)                                       // 000000007F08: BF8CC07F
	s_barrier                                                  // 000000007F0C: BF8A0000
	ds_read_b32 v80, v10 offset:16896                          // 000000007F10: D86C4200 5000000A
	ds_read_b32 v81, v10 offset:16960                          // 000000007F18: D86C4240 5100000A
	ds_read_b32 v82, v10 offset:17024                          // 000000007F20: D86C4280 5200000A
	ds_read_b32 v83, v10 offset:17088                          // 000000007F28: D86C42C0 5300000A
	ds_read_b32 v84, v10 offset:17152                          // 000000007F30: D86C4300 5400000A
	ds_read_b32 v85, v10 offset:17216                          // 000000007F38: D86C4340 5500000A
	ds_read_b32 v86, v10 offset:17280                          // 000000007F40: D86C4380 5600000A
	ds_read_b32 v87, v10 offset:17344                          // 000000007F48: D86C43C0 5700000A
	ds_read_b32 v88, v10 offset:17408                          // 000000007F50: D86C4400 5800000A
	ds_read_b32 v89, v10 offset:17472                          // 000000007F58: D86C4440 5900000A
	ds_read_b32 v90, v10 offset:17536                          // 000000007F60: D86C4480 5A00000A
	ds_read_b32 v91, v10 offset:17600                          // 000000007F68: D86C44C0 5B00000A
	ds_read_b32 v92, v10 offset:17664                          // 000000007F70: D86C4500 5C00000A
	ds_read_b32 v93, v10 offset:17728                          // 000000007F78: D86C4540 5D00000A
	ds_read_b32 v94, v10 offset:17792                          // 000000007F80: D86C4580 5E00000A
	ds_read_b32 v95, v10 offset:17856                          // 000000007F88: D86C45C0 5F00000A
	buffer_load_dwordx4 a[60:63], v32, s[16:19], 0 offen offset:1024// 000000007F90: E05C1400 80843C20
	v_cvt_f32_i32_e32 v192, v192                               // 000000007F98: 7F800BC0
	v_cvt_f32_i32_e32 v193, v193                               // 000000007F9C: 7F820BC1
	v_cvt_f32_i32_e32 v194, v194                               // 000000007FA0: 7F840BC2
	v_cvt_f32_i32_e32 v195, v195                               // 000000007FA4: 7F860BC3
	v_cvt_f32_i32_e32 v196, v196                               // 000000007FA8: 7F880BC4
	v_cvt_f32_i32_e32 v197, v197                               // 000000007FAC: 7F8A0BC5
	v_cvt_f32_i32_e32 v198, v198                               // 000000007FB0: 7F8C0BC6
	v_cvt_f32_i32_e32 v199, v199                               // 000000007FB4: 7F8E0BC7
	v_mul_f32_e32 v192, v58, v192                              // 000000007FB8: 0B81813A
	v_mul_f32_e32 v193, v58, v193                              // 000000007FBC: 0B83833A
	v_mul_f32_e32 v194, v58, v194                              // 000000007FC0: 0B85853A
	v_mul_f32_e32 v195, v58, v195                              // 000000007FC4: 0B87873A
	v_mul_f32_e32 v196, v58, v196                              // 000000007FC8: 0B89893A
	v_mul_f32_e32 v197, v58, v197                              // 000000007FCC: 0B8B8B3A
	v_mul_f32_e32 v198, v58, v198                              // 000000007FD0: 0B8D8D3A
	v_mul_f32_e32 v199, v58, v199                              // 000000007FD4: 0B8F8F3A
	s_waitcnt lgkmcnt(0)                                       // 000000007FD8: BF8CC07F
	v_max3_f32 v62, v80, v81, v62                              // 000000007FDC: D1D3003E 04FAA350
	v_max3_f32 v62, v82, v83, v62                              // 000000007FE4: D1D3003E 04FAA752
	v_max3_f32 v62, v84, v85, v62                              // 000000007FEC: D1D3003E 04FAAB54
	v_max3_f32 v62, v86, v87, v62                              // 000000007FF4: D1D3003E 04FAAF56
	v_max3_f32 v62, v88, v89, v62                              // 000000007FFC: D1D3003E 04FAB358
	v_max3_f32 v62, v90, v91, v62                              // 000000008004: D1D3003E 04FAB75A
	v_max3_f32 v62, v92, v93, v62                              // 00000000800C: D1D3003E 04FABB5C
	v_max3_f32 v62, v94, v95, v62                              // 000000008014: D1D3003E 04FABF5E
	buffer_load_dwordx4 a[96:99], v37, s[20:23], 0 offen       // 00000000801C: E05C1000 80856025
	v_mov_b32_e32 v41, 0xff800000                              // 000000008024: 7E5202FF FF800000
	v_cmp_eq_u32_e64 s[40:41], v41, v14                        // 00000000802C: D0CA0028 00021D29
	s_nop 1                                                    // 000000008034: BF800001
	v_max_f32_e32 v18, v62, v14                                // 000000008038: 16241D3E
	v_mul_f32_e32 v67, s64, v18                                // 00000000803C: 0A862440
	v_fma_f32 v128, v128, s64, -v67                            // 000000008040: D1CB0080 850C8180
	v_fma_f32 v129, v129, s64, -v67                            // 000000008048: D1CB0081 850C8181
	v_fma_f32 v130, v130, s64, -v67                            // 000000008050: D1CB0082 850C8182
	v_fma_f32 v131, v131, s64, -v67                            // 000000008058: D1CB0083 850C8183
	v_fma_f32 v132, v132, s64, -v67                            // 000000008060: D1CB0084 850C8184
	v_fma_f32 v133, v133, s64, -v67                            // 000000008068: D1CB0085 850C8185
	v_fma_f32 v134, v134, s64, -v67                            // 000000008070: D1CB0086 850C8186
	v_fma_f32 v135, v135, s64, -v67                            // 000000008078: D1CB0087 850C8187
	v_fma_f32 v136, v136, s64, -v67                            // 000000008080: D1CB0088 850C8188
	v_fma_f32 v137, v137, s64, -v67                            // 000000008088: D1CB0089 850C8189
	v_fma_f32 v138, v138, s64, -v67                            // 000000008090: D1CB008A 850C818A
	v_fma_f32 v139, v139, s64, -v67                            // 000000008098: D1CB008B 850C818B
	v_fma_f32 v140, v140, s64, -v67                            // 0000000080A0: D1CB008C 850C818C
	v_fma_f32 v141, v141, s64, -v67                            // 0000000080A8: D1CB008D 850C818D
	v_fma_f32 v142, v142, s64, -v67                            // 0000000080B0: D1CB008E 850C818E
	v_fma_f32 v143, v143, s64, -v67                            // 0000000080B8: D1CB008F 850C818F
	buffer_load_dwordx4 a[100:103], v38, s[20:23], 0 offen     // 0000000080C0: E05C1000 80856426
	v_exp_f32_e32 v128, v128                                   // 0000000080C8: 7F004180
	v_exp_f32_e32 v129, v129                                   // 0000000080CC: 7F024181
	v_exp_f32_e32 v130, v130                                   // 0000000080D0: 7F044182
	v_exp_f32_e32 v131, v131                                   // 0000000080D4: 7F064183
	v_exp_f32_e32 v132, v132                                   // 0000000080D8: 7F084184
	v_exp_f32_e32 v133, v133                                   // 0000000080DC: 7F0A4185
	v_exp_f32_e32 v134, v134                                   // 0000000080E0: 7F0C4186
	v_exp_f32_e32 v135, v135                                   // 0000000080E4: 7F0E4187
	v_exp_f32_e32 v136, v136                                   // 0000000080E8: 7F104188
	v_exp_f32_e32 v137, v137                                   // 0000000080EC: 7F124189
	v_exp_f32_e32 v138, v138                                   // 0000000080F0: 7F14418A
	v_exp_f32_e32 v139, v139                                   // 0000000080F4: 7F16418B
	v_exp_f32_e32 v140, v140                                   // 0000000080F8: 7F18418C
	v_exp_f32_e32 v141, v141                                   // 0000000080FC: 7F1A418D
	v_exp_f32_e32 v142, v142                                   // 000000008100: 7F1C418E
	v_exp_f32_e32 v143, v143                                   // 000000008104: 7F1E418F
	buffer_load_dwordx4 a[104:107], v39, s[20:23], 0 offen     // 000000008108: E05C1000 80856827
	v_mul_f32_dpp v240, v252, v128 quad_perm:[0,0,0,0] row_mask:0xf bank_mask:0xf// 000000008110: 0BE100FA FF0000FC
	v_mul_f32_dpp v241, v252, v129 quad_perm:[1,1,1,1] row_mask:0xf bank_mask:0xf// 000000008118: 0BE302FA FF0055FC
	v_mul_f32_dpp v242, v252, v130 quad_perm:[2,2,2,2] row_mask:0xf bank_mask:0xf// 000000008120: 0BE504FA FF00AAFC
	v_mul_f32_dpp v243, v252, v131 quad_perm:[3,3,3,3] row_mask:0xf bank_mask:0xf// 000000008128: 0BE706FA FF00FFFC
	v_mul_f32_dpp v244, v253, v132 quad_perm:[0,0,0,0] row_mask:0xf bank_mask:0xf// 000000008130: 0BE908FA FF0000FD
	v_mul_f32_dpp v245, v253, v133 quad_perm:[1,1,1,1] row_mask:0xf bank_mask:0xf// 000000008138: 0BEB0AFA FF0055FD
	v_mul_f32_dpp v246, v253, v134 quad_perm:[2,2,2,2] row_mask:0xf bank_mask:0xf// 000000008140: 0BED0CFA FF00AAFD
	v_mul_f32_dpp v247, v253, v135 quad_perm:[3,3,3,3] row_mask:0xf bank_mask:0xf// 000000008148: 0BEF0EFA FF00FFFD
	v_mul_f32_dpp v248, v254, v136 quad_perm:[0,0,0,0] row_mask:0xf bank_mask:0xf// 000000008150: 0BF110FA FF0000FE
	v_mul_f32_dpp v249, v254, v137 quad_perm:[1,1,1,1] row_mask:0xf bank_mask:0xf// 000000008158: 0BF312FA FF0055FE
	v_mul_f32_dpp v250, v254, v138 quad_perm:[2,2,2,2] row_mask:0xf bank_mask:0xf// 000000008160: 0BF514FA FF00AAFE
	v_mul_f32_dpp v251, v254, v139 quad_perm:[3,3,3,3] row_mask:0xf bank_mask:0xf// 000000008168: 0BF716FA FF00FFFE
	v_mul_f32_dpp v252, v255, v140 quad_perm:[0,0,0,0] row_mask:0xf bank_mask:0xf// 000000008170: 0BF918FA FF0000FF
	v_mul_f32_dpp v253, v255, v141 quad_perm:[1,1,1,1] row_mask:0xf bank_mask:0xf// 000000008178: 0BFB1AFA FF0055FF
	v_mul_f32_dpp v254, v255, v142 quad_perm:[2,2,2,2] row_mask:0xf bank_mask:0xf// 000000008180: 0BFD1CFA FF00AAFF
	v_mul_f32_dpp v255, v255, v143 quad_perm:[3,3,3,3] row_mask:0xf bank_mask:0xf// 000000008188: 0BFF1EFA FF00FFFF
	v_mov_b32_e32 v62, 0x358637bd                              // 000000008190: 7E7C02FF 358637BD
	v_max3_f32 v62, |v240|, |v241|, v62                        // 000000008198: D1D3033E 04FBE3F0
	v_max3_f32 v62, |v242|, |v243|, v62                        // 0000000081A0: D1D3033E 04FBE7F2
	v_max3_f32 v62, |v244|, |v245|, v62                        // 0000000081A8: D1D3033E 04FBEBF4
	v_max3_f32 v62, |v246|, |v247|, v62                        // 0000000081B0: D1D3033E 04FBEFF6
	v_max3_f32 v62, |v248|, |v249|, v62                        // 0000000081B8: D1D3033E 04FBF3F8
	v_max3_f32 v62, |v250|, |v251|, v62                        // 0000000081C0: D1D3033E 04FBF7FA
	v_max3_f32 v62, |v252|, |v253|, v62                        // 0000000081C8: D1D3033E 04FBFBFC
	v_max3_f32 v62, |v254|, |v255|, v62                        // 0000000081D0: D1D3033E 04FBFFFE
	buffer_load_dwordx4 a[108:111], v40, s[20:23], 0 offen     // 0000000081D8: E05C1000 80856C28
	ds_write_b32 v11, v62 offset:20992                         // 0000000081E0: D81A5200 00003E0B
	v_sub_f32_e32 v63, v14, v18                                // 0000000081E8: 047E250E
	v_cndmask_b32_e64 v63, v63, 0, s[40:41]                    // 0000000081EC: D100003F 00A1013F
	v_mov_b32_e32 v14, v18                                     // 0000000081F4: 7E1C0312
	v_mul_f32_e32 v63, s64, v63                                // 0000000081F8: 0A7E7E40
	v_exp_f32_e32 v63, v63                                     // 0000000081FC: 7E7E413F
	s_waitcnt lgkmcnt(0)                                       // 000000008200: BF8CC07F
	s_barrier                                                  // 000000008204: BF8A0000
	ds_read_b32 v80, v10 offset:20992                          // 000000008208: D86C5200 5000000A
	ds_read_b32 v81, v10 offset:21056                          // 000000008210: D86C5240 5100000A
	ds_read_b32 v82, v10 offset:21120                          // 000000008218: D86C5280 5200000A
	ds_read_b32 v83, v10 offset:21184                          // 000000008220: D86C52C0 5300000A
	ds_read_b32 v84, v10 offset:21248                          // 000000008228: D86C5300 5400000A
	ds_read_b32 v85, v10 offset:21312                          // 000000008230: D86C5340 5500000A
	ds_read_b32 v86, v10 offset:21376                          // 000000008238: D86C5380 5600000A
	ds_read_b32 v87, v10 offset:21440                          // 000000008240: D86C53C0 5700000A
	ds_read_b32 v88, v10 offset:21504                          // 000000008248: D86C5400 5800000A
	ds_read_b32 v89, v10 offset:21568                          // 000000008250: D86C5440 5900000A
	ds_read_b32 v90, v10 offset:21632                          // 000000008258: D86C5480 5A00000A
	ds_read_b32 v91, v10 offset:21696                          // 000000008260: D86C54C0 5B00000A
	ds_read_b32 v92, v10 offset:21760                          // 000000008268: D86C5500 5C00000A
	ds_read_b32 v93, v10 offset:21824                          // 000000008270: D86C5540 5D00000A
	ds_read_b32 v94, v10 offset:21888                          // 000000008278: D86C5580 5E00000A
	ds_read_b32 v95, v10 offset:21952                          // 000000008280: D86C55C0 5F00000A
	v_mul_f32_e32 v47, v63, v47                                // 000000008288: 0A5E5F3F
	v_mov_b32_e32 v18, v128                                    // 00000000828C: 7E240380
	v_add_f32_e32 v18, v129, v18                               // 000000008290: 02242581
	v_add_f32_e32 v18, v130, v18                               // 000000008294: 02242582
	;; [unrolled: 1-line block ×3, first 2 shown]
	v_add_f32_e32 v18, v132, v18                               // 00000000829C: 02242584
	v_add_f32_e32 v18, v133, v18                               // 0000000082A0: 02242585
	v_add_f32_e32 v18, v134, v18                               // 0000000082A4: 02242586
	v_add_f32_e32 v18, v135, v18                               // 0000000082A8: 02242587
	v_add_f32_e32 v18, v136, v18                               // 0000000082AC: 02242588
	v_add_f32_e32 v18, v137, v18                               // 0000000082B0: 02242589
	v_add_f32_e32 v18, v138, v18                               // 0000000082B4: 0224258A
	v_add_f32_e32 v18, v139, v18                               // 0000000082B8: 0224258B
	v_add_f32_e32 v18, v140, v18                               // 0000000082BC: 0224258C
	v_add_f32_e32 v18, v141, v18                               // 0000000082C0: 0224258D
	v_add_f32_e32 v18, v142, v18                               // 0000000082C4: 0224258E
	v_add_f32_e32 v18, v143, v18                               // 0000000082C8: 0224258F
	v_add_f32_e32 v47, v18, v47                                // 0000000082CC: 025E5F12
	s_waitcnt lgkmcnt(0)                                       // 0000000082D0: BF8CC07F
	v_max3_f32 v62, |v80|, |v81|, v62                          // 0000000082D4: D1D3033E 04FAA350
	v_max3_f32 v62, |v82|, |v83|, v62                          // 0000000082DC: D1D3033E 04FAA752
	v_max3_f32 v62, |v84|, |v85|, v62                          // 0000000082E4: D1D3033E 04FAAB54
	v_max3_f32 v62, |v86|, |v87|, v62                          // 0000000082EC: D1D3033E 04FAAF56
	v_max3_f32 v62, |v88|, |v89|, v62                          // 0000000082F4: D1D3033E 04FAB358
	v_max3_f32 v62, |v90|, |v91|, v62                          // 0000000082FC: D1D3033E 04FAB75A
	v_max3_f32 v62, |v92|, |v93|, v62                          // 000000008304: D1D3033E 04FABB5C
	v_max3_f32 v62, |v94|, |v95|, v62                          // 00000000830C: D1D3033E 04FABF5E
	s_nop 2                                                    // 000000008314: BF800002
	v_rcp_f32_e32 v62, v62                                     // 000000008318: 7E7C453E
	s_nop 1                                                    // 00000000831C: BF800001
	v_mul_f32_e32 v62, 0x42fe0000, v62                         // 000000008320: 0A7C7CFF 42FE0000
	v_mul_f32_e32 v128, v62, v240                              // 000000008328: 0B01E13E
	v_mul_f32_e32 v129, v62, v241                              // 00000000832C: 0B03E33E
	v_mul_f32_e32 v130, v62, v242                              // 000000008330: 0B05E53E
	v_mul_f32_e32 v131, v62, v243                              // 000000008334: 0B07E73E
	v_mul_f32_e32 v132, v62, v244                              // 000000008338: 0B09E93E
	v_mul_f32_e32 v133, v62, v245                              // 00000000833C: 0B0BEB3E
	v_mul_f32_e32 v134, v62, v246                              // 000000008340: 0B0DED3E
	v_mul_f32_e32 v135, v62, v247                              // 000000008344: 0B0FEF3E
	v_mul_f32_e32 v136, v62, v248                              // 000000008348: 0B11F13E
	v_mul_f32_e32 v137, v62, v249                              // 00000000834C: 0B13F33E
	v_mul_f32_e32 v138, v62, v250                              // 000000008350: 0B15F53E
	v_mul_f32_e32 v139, v62, v251                              // 000000008354: 0B17F73E
	v_mul_f32_e32 v140, v62, v252                              // 000000008358: 0B19F93E
	v_mul_f32_e32 v141, v62, v253                              // 00000000835C: 0B1BFB3E
	v_mul_f32_e32 v142, v62, v254                              // 000000008360: 0B1DFD3E
	v_mul_f32_e32 v143, v62, v255                              // 000000008364: 0B1FFF3E
	v_cvt_i32_f32_e32 v128, v128                               // 000000008368: 7F001180
	v_cvt_i32_f32_e32 v129, v129                               // 00000000836C: 7F021181
	v_cvt_i32_f32_e32 v130, v130                               // 000000008370: 7F041182
	v_cvt_i32_f32_e32 v131, v131                               // 000000008374: 7F061183
	v_cvt_i32_f32_e32 v132, v132                               // 000000008378: 7F081184
	v_cvt_i32_f32_e32 v133, v133                               // 00000000837C: 7F0A1185
	v_cvt_i32_f32_e32 v134, v134                               // 000000008380: 7F0C1186
	v_cvt_i32_f32_e32 v135, v135                               // 000000008384: 7F0E1187
	v_cvt_i32_f32_e32 v136, v136                               // 000000008388: 7F101188
	v_cvt_i32_f32_e32 v137, v137                               // 00000000838C: 7F121189
	v_cvt_i32_f32_e32 v138, v138                               // 000000008390: 7F14118A
	v_cvt_i32_f32_e32 v139, v139                               // 000000008394: 7F16118B
	v_cvt_i32_f32_e32 v140, v140                               // 000000008398: 7F18118C
	v_cvt_i32_f32_e32 v141, v141                               // 00000000839C: 7F1A118D
	v_cvt_i32_f32_e32 v142, v142                               // 0000000083A0: 7F1C118E
	v_cvt_i32_f32_e32 v143, v143                               // 0000000083A4: 7F1E118F
	v_perm_b32 v128, v129, v128, s53                           // 0000000083A8: D1ED0080 00D70181
	v_perm_b32 v128, v130, v128, s54                           // 0000000083B0: D1ED0080 00DB0182
	v_perm_b32 v128, v131, v128, s55                           // 0000000083B8: D1ED0080 00DF0183
	v_perm_b32 v129, v133, v132, s53                           // 0000000083C0: D1ED0081 00D70985
	v_perm_b32 v129, v134, v129, s54                           // 0000000083C8: D1ED0081 00DB0386
	v_perm_b32 v129, v135, v129, s55                           // 0000000083D0: D1ED0081 00DF0387
	v_perm_b32 v130, v137, v136, s53                           // 0000000083D8: D1ED0082 00D71189
	v_perm_b32 v130, v138, v130, s54                           // 0000000083E0: D1ED0082 00DB058A
	v_perm_b32 v130, v139, v130, s55                           // 0000000083E8: D1ED0082 00DF058B
	v_perm_b32 v131, v141, v140, s53                           // 0000000083F0: D1ED0083 00D7198D
	v_perm_b32 v131, v142, v131, s54                           // 0000000083F8: D1ED0083 00DB078E
	v_perm_b32 v131, v143, v131, s55                           // 000000008400: D1ED0083 00DF078F
	ds_write_b32 v13, v128 offset:25088                        // 000000008408: D81A6200 0000800D
	ds_write_b32 v13, v129 offset:26112                        // 000000008410: D81A6600 0000810D
	ds_write_b32 v13, v130 offset:27136                        // 000000008418: D81A6A00 0000820D
	ds_write_b32 v13, v131 offset:28160                        // 000000008420: D81A6E00 0000830D
	v_add_f32_e32 v224, v224, v192                             // 000000008428: 03C181E0
	v_add_f32_e32 v225, v225, v193                             // 00000000842C: 03C383E1
	v_add_f32_e32 v226, v226, v194                             // 000000008430: 03C585E2
	v_add_f32_e32 v227, v227, v195                             // 000000008434: 03C787E3
	v_add_f32_e32 v228, v228, v196                             // 000000008438: 03C989E4
	v_add_f32_e32 v229, v229, v197                             // 00000000843C: 03CB8BE5
	v_add_f32_e32 v230, v230, v198                             // 000000008440: 03CD8DE6
	v_add_f32_e32 v231, v231, v199                             // 000000008444: 03CF8FE7
	v_rcp_f32_e32 v58, v62                                     // 000000008448: 7E74453E
	s_waitcnt lgkmcnt(0)                                       // 00000000844C: BF8CC07F
	s_barrier                                                  // 000000008450: BF8A0000
	ds_read_b64 v[128:129], v12 offset:25088                   // 000000008454: D8EC6200 8000000C
	ds_read_b64 v[130:131], v12 offset:25216                   // 00000000845C: D8EC6280 8200000C
	ds_read_b64 v[132:133], v12 offset:26112                   // 000000008464: D8EC6600 8400000C
	ds_read_b64 v[134:135], v12 offset:26240                   // 00000000846C: D8EC6680 8600000C
	ds_read_b64 v[136:137], v12 offset:27136                   // 000000008474: D8EC6A00 8800000C
	ds_read_b64 v[138:139], v12 offset:27264                   // 00000000847C: D8EC6A80 8A00000C
	ds_read_b64 v[140:141], v12 offset:28160                   // 000000008484: D8EC6E00 8C00000C
	ds_read_b64 v[142:143], v12 offset:28288                   // 00000000848C: D8EC6E80 8E00000C
	s_waitcnt vmcnt(15)                                        // 000000008494: BF8C0F7F
	s_waitcnt lgkmcnt(7)                                       // 000000008498: BF8CC77F
	v_mfma_i32_16x16x32_i8 v[192:195], a[64:65], v[128:129], 0 // 00000000849C: D3D700C0 0A030140
	buffer_load_dwordx4 a[112:115], v37, s[20:23], 0 offen offset:1024// 0000000084A4: E05C1400 80857025
	s_waitcnt lgkmcnt(6)                                       // 0000000084AC: BF8CC67F
	v_mfma_i32_16x16x32_i8 v[192:195], a[66:67], v[130:131], v[192:195]// 0000000084B0: D3D700C0 0F030542
	s_waitcnt lgkmcnt(5)                                       // 0000000084B8: BF8CC57F
	v_mfma_i32_16x16x32_i8 v[192:195], a[68:69], v[132:133], v[192:195]// 0000000084BC: D3D700C0 0F030944
	s_waitcnt lgkmcnt(4)                                       // 0000000084C4: BF8CC47F
	v_mfma_i32_16x16x32_i8 v[192:195], a[70:71], v[134:135], v[192:195]// 0000000084C8: D3D700C0 0F030D46
	s_waitcnt lgkmcnt(3)                                       // 0000000084D0: BF8CC37F
	v_mfma_i32_16x16x32_i8 v[192:195], a[72:73], v[136:137], v[192:195]// 0000000084D4: D3D700C0 0F031148
	buffer_load_dwordx4 a[116:119], v38, s[20:23], 0 offen offset:1024// 0000000084DC: E05C1400 80857426
	s_waitcnt lgkmcnt(2)                                       // 0000000084E4: BF8CC27F
	v_mfma_i32_16x16x32_i8 v[192:195], a[74:75], v[138:139], v[192:195]// 0000000084E8: D3D700C0 0F03154A
	s_waitcnt lgkmcnt(1)                                       // 0000000084F0: BF8CC17F
	v_mfma_i32_16x16x32_i8 v[192:195], a[76:77], v[140:141], v[192:195]// 0000000084F4: D3D700C0 0F03194C
	s_waitcnt lgkmcnt(0)                                       // 0000000084FC: BF8CC07F
	v_mfma_i32_16x16x32_i8 v[192:195], a[78:79], v[142:143], v[192:195]// 000000008500: D3D700C0 0F031D4E
	v_mfma_i32_16x16x32_i8 v[196:199], a[80:81], v[128:129], 0 // 000000008508: D3D700C4 0A030150
	buffer_load_dwordx4 a[120:123], v39, s[20:23], 0 offen offset:1024// 000000008510: E05C1400 80857827
	v_mfma_i32_16x16x32_i8 v[196:199], a[82:83], v[130:131], v[196:199]// 000000008518: D3D700C4 0F130552
	v_mfma_i32_16x16x32_i8 v[196:199], a[84:85], v[132:133], v[196:199]// 000000008520: D3D700C4 0F130954
	v_mfma_i32_16x16x32_i8 v[196:199], a[86:87], v[134:135], v[196:199]// 000000008528: D3D700C4 0F130D56
	v_mfma_i32_16x16x32_i8 v[196:199], a[88:89], v[136:137], v[196:199]// 000000008530: D3D700C4 0F131158
	buffer_load_dwordx4 a[124:127], v40, s[20:23], 0 offen offset:1024// 000000008538: E05C1400 80857C28
	v_mfma_i32_16x16x32_i8 v[196:199], a[90:91], v[138:139], v[196:199]// 000000008540: D3D700C4 0F13155A
	v_mfma_i32_16x16x32_i8 v[196:199], a[92:93], v[140:141], v[196:199]// 000000008548: D3D700C4 0F13195C
	s_lshr_b32 s57, s70, 4                                     // 000000008550: 8F398446
	s_add_u32 s57, 48, s57                                     // 000000008554: 803939B0
	v_mfma_i32_16x16x32_i8 v[196:199], a[94:95], v[142:143], v[196:199]// 000000008558: D3D700C4 0F131D5E
	s_cmp_ge_u32 s57, s73                                      // 000000008560: BF094939
	s_cselect_b32 s56, 0, s56                                  // 000000008564: 85383880
	v_add_u32_e32 v1, s56, v1                                  // 000000008568: 68020238
	s_addk_i32 s70, 0x100                                      // 00000000856C: B7460100
	s_cmp_lt_i32 s70, s71                                      // 000000008570: BF044746
	s_cbranch_scc0 label_15E7                                  // 000000008574: BF84FD09
	s_waitcnt vmcnt(8) lgkmcnt(0)                              // 000000008578: BF8C0078
	v_mul_u32_u24_dpp v41, v19, v68 row_newbcast:0 row_mask:0xf bank_mask:0xf// 00000000857C: 105288FA FF015013
	v_mul_u32_u24_dpp v42, v19, v68 row_newbcast:4 row_mask:0xf bank_mask:0xf// 000000008584: 105488FA FF015413
	v_mul_u32_u24_dpp v43, v19, v68 row_newbcast:8 row_mask:0xf bank_mask:0xf// 00000000858C: 105688FA FF015813
	v_mul_u32_u24_dpp v44, v19, v68 row_newbcast:12 row_mask:0xf bank_mask:0xf// 000000008594: 105888FA FF015C13
	v_add_u32_e32 v25, v41, v6                                 // 00000000859C: 68320D29
	v_add_u32_e32 v26, v42, v6                                 // 0000000085A0: 68340D2A
	v_add_u32_e32 v27, v43, v6                                 // 0000000085A4: 68360D2B
	v_add_u32_e32 v28, v44, v6                                 // 0000000085A8: 68380D2C
	v_mul_u32_u24_dpp v41, v19, v78 quad_perm:[0,0,0,0] row_mask:0xf bank_mask:0xf// 0000000085AC: 10529CFA FF000013
	v_add_u32_e32 v2, v41, v74                                 // 0000000085B4: 68049529
	v_mul_u32_u24_dpp v41, v19, v78 quad_perm:[0,0,0,0] row_mask:0xf bank_mask:0xf// 0000000085B8: 10529CFA FF000013
	v_add_u32_e32 v70, v41, v75                                // 0000000085C0: 688C9729
	v_mfma_i32_16x16x32_i8 v[128:131], a[32:33], v[96:97], 0   // 0000000085C4: D3D70080 0A02C120
	buffer_load_dwordx4 a[0:3], v25, s[16:19], 0 offen         // 0000000085CC: E05C1000 80840019
	v_mfma_i32_16x16x32_i8 v[128:131], a[34:35], v[98:99], v[128:131]// 0000000085D4: D3D70080 0E02C522
	v_mfma_i32_16x16x32_i8 v[128:131], a[36:37], v[100:101], v[128:131]// 0000000085DC: D3D70080 0E02C924
	buffer_load_dword v20, v1, s[24:27], 0 offen               // 0000000085E4: E0501000 80061401
	v_mfma_i32_16x16x32_i8 v[128:131], a[38:39], v[102:103], v[128:131]// 0000000085EC: D3D70080 0E02CD26
	v_mfma_i32_16x16x32_i8 v[132:135], a[40:41], v[96:97], 0   // 0000000085F4: D3D70084 0A02C128
	buffer_load_dwordx4 a[4:7], v25, s[16:19], 0 offen offset:1024// 0000000085FC: E05C1400 80840419
	v_mfma_i32_16x16x32_i8 v[132:135], a[42:43], v[98:99], v[132:135]// 000000008604: D3D70084 0E12C52A
	v_mfma_i32_16x16x32_i8 v[132:135], a[44:45], v[100:101], v[132:135]// 00000000860C: D3D70084 0E12C92C
	v_mfma_i32_16x16x32_i8 v[132:135], a[46:47], v[102:103], v[132:135]// 000000008614: D3D70084 0E12CD2E
	v_mfma_i32_16x16x32_i8 v[136:139], a[48:49], v[96:97], 0   // 00000000861C: D3D70088 0A02C130
	buffer_load_dwordx4 a[8:11], v26, s[16:19], 0 offen        // 000000008624: E05C1000 8084081A
	v_mfma_i32_16x16x32_i8 v[136:139], a[50:51], v[98:99], v[136:139]// 00000000862C: D3D70088 0E22C532
	v_mfma_i32_16x16x32_i8 v[136:139], a[52:53], v[100:101], v[136:139]// 000000008634: D3D70088 0E22C934
	v_mfma_i32_16x16x32_i8 v[136:139], a[54:55], v[102:103], v[136:139]// 00000000863C: D3D70088 0E22CD36
	v_mfma_i32_16x16x32_i8 v[140:143], a[56:57], v[96:97], 0   // 000000008644: D3D7008C 0A02C138
	buffer_load_dwordx4 a[12:15], v26, s[16:19], 0 offen offset:1024// 00000000864C: E05C1400 80840C1A
	v_mfma_i32_16x16x32_i8 v[140:143], a[58:59], v[98:99], v[140:143]// 000000008654: D3D7008C 0E32C53A
	v_mfma_i32_16x16x32_i8 v[140:143], a[60:61], v[100:101], v[140:143]// 00000000865C: D3D7008C 0E32C93C
	v_mfma_i32_16x16x32_i8 v[140:143], a[62:63], v[102:103], v[140:143]// 000000008664: D3D7008C 0E32CD3E
	buffer_load_dword v52, v2, s[32:35], 0 offen               // 00000000866C: E0501000 80083402
	v_mov_b32_dpp v41, v53 row_shr:4 row_mask:0xf bank_mask:0xf// 000000008674: 7E5202FA FF011435
	v_mov_b32_dpp v42, v53 row_shl:4 row_mask:0xf bank_mask:0xf// 00000000867C: 7E5402FA FF010435
	v_cndmask_b32_e64 v248, v53, v41, s[44:45]                 // 000000008684: D10000F8 00B25335
	v_cndmask_b32_e64 v249, v42, v53, s[44:45]                 // 00000000868C: D10000F9 00B26B2A
	v_mov_b32_dpp v41, v248 row_shr:8 row_mask:0xf bank_mask:0xf// 000000008694: 7E5202FA FF0118F8
	v_mov_b32_dpp v42, v248 row_shl:8 row_mask:0xf bank_mask:0xf// 00000000869C: 7E5402FA FF0108F8
	v_mov_b32_dpp v43, v249 row_shr:8 row_mask:0xf bank_mask:0xf// 0000000086A4: 7E5602FA FF0118F9
	v_mov_b32_dpp v44, v249 row_shl:8 row_mask:0xf bank_mask:0xf// 0000000086AC: 7E5802FA FF0108F9
	v_mov_b32_e32 v45, v248                                    // 0000000086B4: 7E5A03F8
	v_mov_b32_e32 v46, v249                                    // 0000000086B8: 7E5C03F9
	v_cndmask_b32_e64 v248, v45, v41, s[42:43]                 // 0000000086BC: D10000F8 00AA532D
	v_cndmask_b32_e64 v250, v45, v42, s[78:79]                 // 0000000086C4: D10000FA 013A552D
	v_cndmask_b32_e64 v249, v46, v43, s[42:43]                 // 0000000086CC: D10000F9 00AA572E
	v_cndmask_b32_e64 v251, v46, v44, s[78:79]                 // 0000000086D4: D10000FB 013A592E
	v_mov_b32_dpp v41, v73 row_shr:4 row_mask:0xf bank_mask:0xf// 0000000086DC: 7E5202FA FF011449
	v_mov_b32_dpp v42, v73 row_shl:4 row_mask:0xf bank_mask:0xf// 0000000086E4: 7E5402FA FF010449
	v_cndmask_b32_e64 v252, v73, v41, s[44:45]                 // 0000000086EC: D10000FC 00B25349
	v_cndmask_b32_e64 v253, v42, v73, s[44:45]                 // 0000000086F4: D10000FD 00B2932A
	v_mov_b32_dpp v41, v252 row_shr:8 row_mask:0xf bank_mask:0xf// 0000000086FC: 7E5202FA FF0118FC
	v_mov_b32_dpp v42, v252 row_shl:8 row_mask:0xf bank_mask:0xf// 000000008704: 7E5402FA FF0108FC
	v_mov_b32_dpp v43, v253 row_shr:8 row_mask:0xf bank_mask:0xf// 00000000870C: 7E5602FA FF0118FD
	v_mov_b32_dpp v44, v253 row_shl:8 row_mask:0xf bank_mask:0xf// 000000008714: 7E5802FA FF0108FD
	v_mov_b32_e32 v45, v252                                    // 00000000871C: 7E5A03FC
	v_mov_b32_e32 v46, v253                                    // 000000008720: 7E5C03FD
	v_cndmask_b32_e64 v252, v45, v41, s[42:43]                 // 000000008724: D10000FC 00AA532D
	v_cndmask_b32_e64 v254, v45, v42, s[78:79]                 // 00000000872C: D10000FE 013A552D
	v_cndmask_b32_e64 v253, v46, v43, s[42:43]                 // 000000008734: D10000FD 00AA572E
	v_cndmask_b32_e64 v255, v46, v44, s[78:79]                 // 00000000873C: D10000FF 013A592E
	buffer_load_dword v72, v70, s[36:39], 0 offen              // 000000008744: E0501000 80094846
	v_cvt_f32_i32_e32 v128, v128                               // 00000000874C: 7F000B80
	v_cvt_f32_i32_e32 v129, v129                               // 000000008750: 7F020B81
	v_cvt_f32_i32_e32 v130, v130                               // 000000008754: 7F040B82
	v_cvt_f32_i32_e32 v131, v131                               // 000000008758: 7F060B83
	v_cvt_f32_i32_e32 v132, v132                               // 00000000875C: 7F080B84
	v_cvt_f32_i32_e32 v133, v133                               // 000000008760: 7F0A0B85
	v_cvt_f32_i32_e32 v134, v134                               // 000000008764: 7F0C0B86
	v_cvt_f32_i32_e32 v135, v135                               // 000000008768: 7F0E0B87
	v_cvt_f32_i32_e32 v136, v136                               // 00000000876C: 7F100B88
	v_cvt_f32_i32_e32 v137, v137                               // 000000008770: 7F120B89
	v_cvt_f32_i32_e32 v138, v138                               // 000000008774: 7F140B8A
	v_cvt_f32_i32_e32 v139, v139                               // 000000008778: 7F160B8B
	v_cvt_f32_i32_e32 v140, v140                               // 00000000877C: 7F180B8C
	v_cvt_f32_i32_e32 v141, v141                               // 000000008780: 7F1A0B8D
	v_cvt_f32_i32_e32 v142, v142                               // 000000008784: 7F1C0B8E
	v_cvt_f32_i32_e32 v143, v143                               // 000000008788: 7F1E0B8F
	v_mul_f32_e32 v128, v54, v128                              // 00000000878C: 0B010136
	v_mul_f32_e32 v129, v54, v129                              // 000000008790: 0B030336
	v_mul_f32_e32 v130, v54, v130                              // 000000008794: 0B050536
	v_mul_f32_e32 v131, v54, v131                              // 000000008798: 0B070736
	v_mul_f32_e32 v132, v54, v132                              // 00000000879C: 0B090936
	v_mul_f32_e32 v133, v54, v133                              // 0000000087A0: 0B0B0B36
	v_mul_f32_e32 v134, v54, v134                              // 0000000087A4: 0B0D0D36
	v_mul_f32_e32 v135, v54, v135                              // 0000000087A8: 0B0F0F36
	v_mul_f32_e32 v136, v54, v136                              // 0000000087AC: 0B111136
	v_mul_f32_e32 v137, v54, v137                              // 0000000087B0: 0B131336
	v_mul_f32_e32 v138, v54, v138                              // 0000000087B4: 0B151536
	v_mul_f32_e32 v139, v54, v139                              // 0000000087B8: 0B171736
	v_mul_f32_e32 v140, v54, v140                              // 0000000087BC: 0B191936
	v_mul_f32_e32 v141, v54, v141                              // 0000000087C0: 0B1B1B36
	v_mul_f32_e32 v142, v54, v142                              // 0000000087C4: 0B1D1D36
	v_mul_f32_e32 v143, v54, v143                              // 0000000087C8: 0B1F1F36
	buffer_load_dwordx4 a[16:19], v27, s[16:19], 0 offen       // 0000000087CC: E05C1000 8084101B
	v_mul_f32_dpp v128, v248, v128 quad_perm:[0,0,0,0] row_mask:0xf bank_mask:0xf// 0000000087D4: 0B0100FA FF0000F8
	v_mul_f32_dpp v129, v248, v129 quad_perm:[1,1,1,1] row_mask:0xf bank_mask:0xf// 0000000087DC: 0B0302FA FF0055F8
	v_mul_f32_dpp v130, v248, v130 quad_perm:[2,2,2,2] row_mask:0xf bank_mask:0xf// 0000000087E4: 0B0504FA FF00AAF8
	v_mul_f32_dpp v131, v248, v131 quad_perm:[3,3,3,3] row_mask:0xf bank_mask:0xf// 0000000087EC: 0B0706FA FF00FFF8
	v_mul_f32_dpp v132, v249, v132 quad_perm:[0,0,0,0] row_mask:0xf bank_mask:0xf// 0000000087F4: 0B0908FA FF0000F9
	v_mul_f32_dpp v133, v249, v133 quad_perm:[1,1,1,1] row_mask:0xf bank_mask:0xf// 0000000087FC: 0B0B0AFA FF0055F9
	v_mul_f32_dpp v134, v249, v134 quad_perm:[2,2,2,2] row_mask:0xf bank_mask:0xf// 000000008804: 0B0D0CFA FF00AAF9
	v_mul_f32_dpp v135, v249, v135 quad_perm:[3,3,3,3] row_mask:0xf bank_mask:0xf// 00000000880C: 0B0F0EFA FF00FFF9
	v_mul_f32_dpp v136, v250, v136 quad_perm:[0,0,0,0] row_mask:0xf bank_mask:0xf// 000000008814: 0B1110FA FF0000FA
	v_mul_f32_dpp v137, v250, v137 quad_perm:[1,1,1,1] row_mask:0xf bank_mask:0xf// 00000000881C: 0B1312FA FF0055FA
	v_mul_f32_dpp v138, v250, v138 quad_perm:[2,2,2,2] row_mask:0xf bank_mask:0xf// 000000008824: 0B1514FA FF00AAFA
	v_mul_f32_dpp v139, v250, v139 quad_perm:[3,3,3,3] row_mask:0xf bank_mask:0xf// 00000000882C: 0B1716FA FF00FFFA
	v_mul_f32_dpp v140, v251, v140 quad_perm:[0,0,0,0] row_mask:0xf bank_mask:0xf// 000000008834: 0B1918FA FF0000FB
	v_mul_f32_dpp v141, v251, v141 quad_perm:[1,1,1,1] row_mask:0xf bank_mask:0xf// 00000000883C: 0B1B1AFA FF0055FB
	v_mul_f32_dpp v142, v251, v142 quad_perm:[2,2,2,2] row_mask:0xf bank_mask:0xf// 000000008844: 0B1D1CFA FF00AAFB
	v_mul_f32_dpp v143, v251, v143 quad_perm:[3,3,3,3] row_mask:0xf bank_mask:0xf// 00000000884C: 0B1F1EFA FF00FFFB
	buffer_load_dwordx4 a[20:23], v27, s[16:19], 0 offen offset:1024// 000000008854: E05C1400 8084141B
	s_cmp_le_i32 s90, s89                                      // 00000000885C: BF05595A
	s_cbranch_scc1 label_1A0C                                  // 000000008860: BF850073
	v_mov_b32_e32 v69, 0xff800000                              // 000000008864: 7E8A02FF FF800000
	s_mov_b32 s60, s90                                         // 00000000886C: BEBC005A
	s_add_u32 s61, s89, 0xff                                   // 000000008870: 803DFF59 000000FF
	v_mov_b32_e32 v41, s61                                     // 000000008878: 7E52023D
	v_lshrrev_b32_e32 v240, 4, v0                              // 00000000887C: 21E00084
	v_mul_i32_i24_e32 v240, 4, v240                            // 000000008880: 0DE1E084
	v_add_u32_e32 v240, s60, v240                              // 000000008884: 69E1E03C
	v_and_b32_e32 v42, 15, v0                                  // 000000008888: 2654008F
	v_lshrrev_b32_e32 v42, 3, v42                              // 00000000888C: 20545483
	s_mov_b32 s61, 0                                           // 000000008890: BEBD0080
	s_mul_i32 s60, 16, s7                                      // 000000008894: 923C0790
	v_add_u32_e32 v42, s61, v42                                // 000000008898: 6854543D
	v_sub_u32_e32 v240, v240, v42                              // 00000000889C: 6BE055F0
	v_add_u32_e32 v240, s60, v240                              // 0000000088A0: 69E1E03C
	v_add_u32_e32 v241, 1, v240                                // 0000000088A4: 69E3E081
	v_add_u32_e32 v242, 2, v240                                // 0000000088A8: 69E5E082
	v_add_u32_e32 v243, 3, v240                                // 0000000088AC: 69E7E083
	v_cmp_le_u32_e64 s[40:41], v240, v41                       // 0000000088B0: D0CB0028 000253F0
	v_add_u32_e32 v240, 64, v240                               // 0000000088B8: 69E1E0C0
	s_nop 0                                                    // 0000000088BC: BF800000
	v_cndmask_b32_e64 v128, v69, v128, s[40:41]                // 0000000088C0: D1000080 00A30145
	v_cmp_le_u32_e64 s[40:41], v241, v41                       // 0000000088C8: D0CB0028 000253F1
	v_add_u32_e32 v241, 64, v241                               // 0000000088D0: 69E3E2C0
	s_nop 0                                                    // 0000000088D4: BF800000
	v_cndmask_b32_e64 v129, v69, v129, s[40:41]                // 0000000088D8: D1000081 00A30345
	v_cmp_le_u32_e64 s[40:41], v242, v41                       // 0000000088E0: D0CB0028 000253F2
	v_add_u32_e32 v242, 64, v242                               // 0000000088E8: 69E5E4C0
	s_nop 0                                                    // 0000000088EC: BF800000
	v_cndmask_b32_e64 v130, v69, v130, s[40:41]                // 0000000088F0: D1000082 00A30545
	v_cmp_le_u32_e64 s[40:41], v243, v41                       // 0000000088F8: D0CB0028 000253F3
	v_add_u32_e32 v243, 64, v243                               // 000000008900: 69E7E6C0
	s_nop 0                                                    // 000000008904: BF800000
	v_cndmask_b32_e64 v131, v69, v131, s[40:41]                // 000000008908: D1000083 00A30745
	v_cmp_le_u32_e64 s[40:41], v240, v41                       // 000000008910: D0CB0028 000253F0
	v_add_u32_e32 v240, 64, v240                               // 000000008918: 69E1E0C0
	s_nop 0                                                    // 00000000891C: BF800000
	v_cndmask_b32_e64 v132, v69, v132, s[40:41]                // 000000008920: D1000084 00A30945
	v_cmp_le_u32_e64 s[40:41], v241, v41                       // 000000008928: D0CB0028 000253F1
	v_add_u32_e32 v241, 64, v241                               // 000000008930: 69E3E2C0
	s_nop 0                                                    // 000000008934: BF800000
	v_cndmask_b32_e64 v133, v69, v133, s[40:41]                // 000000008938: D1000085 00A30B45
	v_cmp_le_u32_e64 s[40:41], v242, v41                       // 000000008940: D0CB0028 000253F2
	v_add_u32_e32 v242, 64, v242                               // 000000008948: 69E5E4C0
	s_nop 0                                                    // 00000000894C: BF800000
	v_cndmask_b32_e64 v134, v69, v134, s[40:41]                // 000000008950: D1000086 00A30D45
	v_cmp_le_u32_e64 s[40:41], v243, v41                       // 000000008958: D0CB0028 000253F3
	v_add_u32_e32 v243, 64, v243                               // 000000008960: 69E7E6C0
	s_nop 0                                                    // 000000008964: BF800000
	v_cndmask_b32_e64 v135, v69, v135, s[40:41]                // 000000008968: D1000087 00A30F45
	v_cmp_le_u32_e64 s[40:41], v240, v41                       // 000000008970: D0CB0028 000253F0
	v_add_u32_e32 v240, 64, v240                               // 000000008978: 69E1E0C0
	s_nop 0                                                    // 00000000897C: BF800000
	v_cndmask_b32_e64 v136, v69, v136, s[40:41]                // 000000008980: D1000088 00A31145
	v_cmp_le_u32_e64 s[40:41], v241, v41                       // 000000008988: D0CB0028 000253F1
	v_add_u32_e32 v241, 64, v241                               // 000000008990: 69E3E2C0
	s_nop 0                                                    // 000000008994: BF800000
	v_cndmask_b32_e64 v137, v69, v137, s[40:41]                // 000000008998: D1000089 00A31345
	v_cmp_le_u32_e64 s[40:41], v242, v41                       // 0000000089A0: D0CB0028 000253F2
	v_add_u32_e32 v242, 64, v242                               // 0000000089A8: 69E5E4C0
	s_nop 0                                                    // 0000000089AC: BF800000
	v_cndmask_b32_e64 v138, v69, v138, s[40:41]                // 0000000089B0: D100008A 00A31545
	v_cmp_le_u32_e64 s[40:41], v243, v41                       // 0000000089B8: D0CB0028 000253F3
	v_add_u32_e32 v243, 64, v243                               // 0000000089C0: 69E7E6C0
	s_nop 0                                                    // 0000000089C4: BF800000
	v_cndmask_b32_e64 v139, v69, v139, s[40:41]                // 0000000089C8: D100008B 00A31745
	v_cmp_le_u32_e64 s[40:41], v240, v41                       // 0000000089D0: D0CB0028 000253F0
	v_add_u32_e32 v240, 64, v240                               // 0000000089D8: 69E1E0C0
	s_nop 0                                                    // 0000000089DC: BF800000
	v_cndmask_b32_e64 v140, v69, v140, s[40:41]                // 0000000089E0: D100008C 00A31945
	v_cmp_le_u32_e64 s[40:41], v241, v41                       // 0000000089E8: D0CB0028 000253F1
	v_add_u32_e32 v241, 64, v241                               // 0000000089F0: 69E3E2C0
	s_nop 0                                                    // 0000000089F4: BF800000
	v_cndmask_b32_e64 v141, v69, v141, s[40:41]                // 0000000089F8: D100008D 00A31B45
	v_cmp_le_u32_e64 s[40:41], v242, v41                       // 000000008A00: D0CB0028 000253F2
	v_add_u32_e32 v242, 64, v242                               // 000000008A08: 69E5E4C0
	s_nop 0                                                    // 000000008A0C: BF800000
	v_cndmask_b32_e64 v142, v69, v142, s[40:41]                // 000000008A10: D100008E 00A31D45
	v_cmp_le_u32_e64 s[40:41], v243, v41                       // 000000008A18: D0CB0028 000253F3
	v_add_u32_e32 v243, 64, v243                               // 000000008A20: 69E7E6C0
	s_nop 0                                                    // 000000008A24: BF800000
	v_cndmask_b32_e64 v143, v69, v143, s[40:41]                // 000000008A28: D100008F 00A31F45

0000000000008a30 <label_1A0C>:
	s_add_u32 s90, s91, s90                                    // 000000008A30: 805A5A5B
	v_mov_b32_e32 v62, v128                                    // 000000008A34: 7E7C0380
	v_max3_f32 v62, v128, v129, v62                            // 000000008A38: D1D3003E 04FB0380
	v_max3_f32 v62, v130, v131, v62                            // 000000008A40: D1D3003E 04FB0782
	v_max3_f32 v62, v132, v133, v62                            // 000000008A48: D1D3003E 04FB0B84
	v_max3_f32 v62, v134, v135, v62                            // 000000008A50: D1D3003E 04FB0F86
	v_max3_f32 v62, v136, v137, v62                            // 000000008A58: D1D3003E 04FB1388
	v_max3_f32 v62, v138, v139, v62                            // 000000008A60: D1D3003E 04FB178A
	v_max3_f32 v62, v140, v141, v62                            // 000000008A68: D1D3003E 04FB1B8C
	v_max3_f32 v62, v142, v143, v62                            // 000000008A70: D1D3003E 04FB1F8E
	ds_write_b32 v11, v62 offset:16896                         // 000000008A78: D81A4200 00003E0B
	buffer_load_dwordx4 a[24:27], v28, s[16:19], 0 offen       // 000000008A80: E05C1000 8084181C
	v_mul_u32_u24_dpp v41, v19, v68 row_newbcast:1 row_mask:0xf bank_mask:0xf// 000000008A88: 105288FA FF015113
	v_mul_u32_u24_dpp v42, v19, v68 row_newbcast:5 row_mask:0xf bank_mask:0xf// 000000008A90: 105488FA FF015513
	v_mul_u32_u24_dpp v43, v19, v68 row_newbcast:9 row_mask:0xf bank_mask:0xf// 000000008A98: 105688FA FF015913
	v_mul_u32_u24_dpp v44, v19, v68 row_newbcast:13 row_mask:0xf bank_mask:0xf// 000000008AA0: 105888FA FF015D13
	v_add_u32_e32 v33, v41, v7                                 // 000000008AA8: 68420F29
	v_add_u32_e32 v34, v42, v7                                 // 000000008AAC: 68440F2A
	v_add_u32_e32 v35, v43, v7                                 // 000000008AB0: 68460F2B
	v_add_u32_e32 v36, v44, v7                                 // 000000008AB4: 68480F2C
	v_mul_f32_e32 v224, v63, v224                              // 000000008AB8: 0BC1C13F
	v_mul_f32_e32 v225, v63, v225                              // 000000008ABC: 0BC3C33F
	v_mul_f32_e32 v226, v63, v226                              // 000000008AC0: 0BC5C53F
	v_mul_f32_e32 v227, v63, v227                              // 000000008AC4: 0BC7C73F
	v_mul_f32_e32 v228, v63, v228                              // 000000008AC8: 0BC9C93F
	v_mul_f32_e32 v229, v63, v229                              // 000000008ACC: 0BCBCB3F
	v_mul_f32_e32 v230, v63, v230                              // 000000008AD0: 0BCDCD3F
	v_mul_f32_e32 v231, v63, v231                              // 000000008AD4: 0BCFCF3F
	s_waitcnt lgkmcnt(0)                                       // 000000008AD8: BF8CC07F
	s_barrier                                                  // 000000008ADC: BF8A0000
	ds_read_b32 v80, v10 offset:16896                          // 000000008AE0: D86C4200 5000000A
	ds_read_b32 v81, v10 offset:16960                          // 000000008AE8: D86C4240 5100000A
	ds_read_b32 v82, v10 offset:17024                          // 000000008AF0: D86C4280 5200000A
	ds_read_b32 v83, v10 offset:17088                          // 000000008AF8: D86C42C0 5300000A
	ds_read_b32 v84, v10 offset:17152                          // 000000008B00: D86C4300 5400000A
	ds_read_b32 v85, v10 offset:17216                          // 000000008B08: D86C4340 5500000A
	ds_read_b32 v86, v10 offset:17280                          // 000000008B10: D86C4380 5600000A
	ds_read_b32 v87, v10 offset:17344                          // 000000008B18: D86C43C0 5700000A
	ds_read_b32 v88, v10 offset:17408                          // 000000008B20: D86C4400 5800000A
	ds_read_b32 v89, v10 offset:17472                          // 000000008B28: D86C4440 5900000A
	ds_read_b32 v90, v10 offset:17536                          // 000000008B30: D86C4480 5A00000A
	ds_read_b32 v91, v10 offset:17600                          // 000000008B38: D86C44C0 5B00000A
	ds_read_b32 v92, v10 offset:17664                          // 000000008B40: D86C4500 5C00000A
	ds_read_b32 v93, v10 offset:17728                          // 000000008B48: D86C4540 5D00000A
	ds_read_b32 v94, v10 offset:17792                          // 000000008B50: D86C4580 5E00000A
	ds_read_b32 v95, v10 offset:17856                          // 000000008B58: D86C45C0 5F00000A
	buffer_load_dwordx4 a[28:31], v28, s[16:19], 0 offen offset:1024// 000000008B60: E05C1400 80841C1C
	v_cvt_f32_i32_e32 v192, v192                               // 000000008B68: 7F800BC0
	v_cvt_f32_i32_e32 v193, v193                               // 000000008B6C: 7F820BC1
	v_cvt_f32_i32_e32 v194, v194                               // 000000008B70: 7F840BC2
	v_cvt_f32_i32_e32 v195, v195                               // 000000008B74: 7F860BC3
	v_cvt_f32_i32_e32 v196, v196                               // 000000008B78: 7F880BC4
	v_cvt_f32_i32_e32 v197, v197                               // 000000008B7C: 7F8A0BC5
	v_cvt_f32_i32_e32 v198, v198                               // 000000008B80: 7F8C0BC6
	v_cvt_f32_i32_e32 v199, v199                               // 000000008B84: 7F8E0BC7
	v_mul_f32_e32 v192, v58, v192                              // 000000008B88: 0B81813A
	v_mul_f32_e32 v193, v58, v193                              // 000000008B8C: 0B83833A
	v_mul_f32_e32 v194, v58, v194                              // 000000008B90: 0B85853A
	v_mul_f32_e32 v195, v58, v195                              // 000000008B94: 0B87873A
	v_mul_f32_e32 v196, v58, v196                              // 000000008B98: 0B89893A
	v_mul_f32_e32 v197, v58, v197                              // 000000008B9C: 0B8B8B3A
	v_mul_f32_e32 v198, v58, v198                              // 000000008BA0: 0B8D8D3A
	v_mul_f32_e32 v199, v58, v199                              // 000000008BA4: 0B8F8F3A
	s_waitcnt lgkmcnt(0)                                       // 000000008BA8: BF8CC07F
	v_max3_f32 v62, v80, v81, v62                              // 000000008BAC: D1D3003E 04FAA350
	v_max3_f32 v62, v82, v83, v62                              // 000000008BB4: D1D3003E 04FAA752
	v_max3_f32 v62, v84, v85, v62                              // 000000008BBC: D1D3003E 04FAAB54
	v_max3_f32 v62, v86, v87, v62                              // 000000008BC4: D1D3003E 04FAAF56
	v_max3_f32 v62, v88, v89, v62                              // 000000008BCC: D1D3003E 04FAB358
	v_max3_f32 v62, v90, v91, v62                              // 000000008BD4: D1D3003E 04FAB75A
	v_max3_f32 v62, v92, v93, v62                              // 000000008BDC: D1D3003E 04FABB5C
	v_max3_f32 v62, v94, v95, v62                              // 000000008BE4: D1D3003E 04FABF5E
	buffer_load_dwordx4 a[64:67], v33, s[20:23], 0 offen       // 000000008BEC: E05C1000 80854021
	v_mov_b32_e32 v41, 0xff800000                              // 000000008BF4: 7E5202FF FF800000
	v_cmp_eq_u32_e64 s[40:41], v41, v14                        // 000000008BFC: D0CA0028 00021D29
	s_nop 1                                                    // 000000008C04: BF800001
	v_max_f32_e32 v18, v62, v14                                // 000000008C08: 16241D3E
	v_mul_f32_e32 v67, s64, v18                                // 000000008C0C: 0A862440
	v_fma_f32 v128, v128, s64, -v67                            // 000000008C10: D1CB0080 850C8180
	v_fma_f32 v129, v129, s64, -v67                            // 000000008C18: D1CB0081 850C8181
	v_fma_f32 v130, v130, s64, -v67                            // 000000008C20: D1CB0082 850C8182
	v_fma_f32 v131, v131, s64, -v67                            // 000000008C28: D1CB0083 850C8183
	v_fma_f32 v132, v132, s64, -v67                            // 000000008C30: D1CB0084 850C8184
	v_fma_f32 v133, v133, s64, -v67                            // 000000008C38: D1CB0085 850C8185
	v_fma_f32 v134, v134, s64, -v67                            // 000000008C40: D1CB0086 850C8186
	v_fma_f32 v135, v135, s64, -v67                            // 000000008C48: D1CB0087 850C8187
	v_fma_f32 v136, v136, s64, -v67                            // 000000008C50: D1CB0088 850C8188
	v_fma_f32 v137, v137, s64, -v67                            // 000000008C58: D1CB0089 850C8189
	v_fma_f32 v138, v138, s64, -v67                            // 000000008C60: D1CB008A 850C818A
	v_fma_f32 v139, v139, s64, -v67                            // 000000008C68: D1CB008B 850C818B
	v_fma_f32 v140, v140, s64, -v67                            // 000000008C70: D1CB008C 850C818C
	v_fma_f32 v141, v141, s64, -v67                            // 000000008C78: D1CB008D 850C818D
	v_fma_f32 v142, v142, s64, -v67                            // 000000008C80: D1CB008E 850C818E
	v_fma_f32 v143, v143, s64, -v67                            // 000000008C88: D1CB008F 850C818F
	buffer_load_dwordx4 a[68:71], v34, s[20:23], 0 offen       // 000000008C90: E05C1000 80854422
	v_exp_f32_e32 v128, v128                                   // 000000008C98: 7F004180
	v_exp_f32_e32 v129, v129                                   // 000000008C9C: 7F024181
	v_exp_f32_e32 v130, v130                                   // 000000008CA0: 7F044182
	v_exp_f32_e32 v131, v131                                   // 000000008CA4: 7F064183
	v_exp_f32_e32 v132, v132                                   // 000000008CA8: 7F084184
	v_exp_f32_e32 v133, v133                                   // 000000008CAC: 7F0A4185
	v_exp_f32_e32 v134, v134                                   // 000000008CB0: 7F0C4186
	v_exp_f32_e32 v135, v135                                   // 000000008CB4: 7F0E4187
	v_exp_f32_e32 v136, v136                                   // 000000008CB8: 7F104188
	v_exp_f32_e32 v137, v137                                   // 000000008CBC: 7F124189
	v_exp_f32_e32 v138, v138                                   // 000000008CC0: 7F14418A
	v_exp_f32_e32 v139, v139                                   // 000000008CC4: 7F16418B
	v_exp_f32_e32 v140, v140                                   // 000000008CC8: 7F18418C
	v_exp_f32_e32 v141, v141                                   // 000000008CCC: 7F1A418D
	v_exp_f32_e32 v142, v142                                   // 000000008CD0: 7F1C418E
	v_exp_f32_e32 v143, v143                                   // 000000008CD4: 7F1E418F
	buffer_load_dwordx4 a[72:75], v35, s[20:23], 0 offen       // 000000008CD8: E05C1000 80854823
	v_mul_f32_dpp v240, v252, v128 quad_perm:[0,0,0,0] row_mask:0xf bank_mask:0xf// 000000008CE0: 0BE100FA FF0000FC
	v_mul_f32_dpp v241, v252, v129 quad_perm:[1,1,1,1] row_mask:0xf bank_mask:0xf// 000000008CE8: 0BE302FA FF0055FC
	v_mul_f32_dpp v242, v252, v130 quad_perm:[2,2,2,2] row_mask:0xf bank_mask:0xf// 000000008CF0: 0BE504FA FF00AAFC
	v_mul_f32_dpp v243, v252, v131 quad_perm:[3,3,3,3] row_mask:0xf bank_mask:0xf// 000000008CF8: 0BE706FA FF00FFFC
	v_mul_f32_dpp v244, v253, v132 quad_perm:[0,0,0,0] row_mask:0xf bank_mask:0xf// 000000008D00: 0BE908FA FF0000FD
	v_mul_f32_dpp v245, v253, v133 quad_perm:[1,1,1,1] row_mask:0xf bank_mask:0xf// 000000008D08: 0BEB0AFA FF0055FD
	v_mul_f32_dpp v246, v253, v134 quad_perm:[2,2,2,2] row_mask:0xf bank_mask:0xf// 000000008D10: 0BED0CFA FF00AAFD
	v_mul_f32_dpp v247, v253, v135 quad_perm:[3,3,3,3] row_mask:0xf bank_mask:0xf// 000000008D18: 0BEF0EFA FF00FFFD
	v_mul_f32_dpp v248, v254, v136 quad_perm:[0,0,0,0] row_mask:0xf bank_mask:0xf// 000000008D20: 0BF110FA FF0000FE
	v_mul_f32_dpp v249, v254, v137 quad_perm:[1,1,1,1] row_mask:0xf bank_mask:0xf// 000000008D28: 0BF312FA FF0055FE
	v_mul_f32_dpp v250, v254, v138 quad_perm:[2,2,2,2] row_mask:0xf bank_mask:0xf// 000000008D30: 0BF514FA FF00AAFE
	v_mul_f32_dpp v251, v254, v139 quad_perm:[3,3,3,3] row_mask:0xf bank_mask:0xf// 000000008D38: 0BF716FA FF00FFFE
	v_mul_f32_dpp v252, v255, v140 quad_perm:[0,0,0,0] row_mask:0xf bank_mask:0xf// 000000008D40: 0BF918FA FF0000FF
	v_mul_f32_dpp v253, v255, v141 quad_perm:[1,1,1,1] row_mask:0xf bank_mask:0xf// 000000008D48: 0BFB1AFA FF0055FF
	v_mul_f32_dpp v254, v255, v142 quad_perm:[2,2,2,2] row_mask:0xf bank_mask:0xf// 000000008D50: 0BFD1CFA FF00AAFF
	v_mul_f32_dpp v255, v255, v143 quad_perm:[3,3,3,3] row_mask:0xf bank_mask:0xf// 000000008D58: 0BFF1EFA FF00FFFF
	v_mov_b32_e32 v62, 0x358637bd                              // 000000008D60: 7E7C02FF 358637BD
	v_max3_f32 v62, |v240|, |v241|, v62                        // 000000008D68: D1D3033E 04FBE3F0
	v_max3_f32 v62, |v242|, |v243|, v62                        // 000000008D70: D1D3033E 04FBE7F2
	v_max3_f32 v62, |v244|, |v245|, v62                        // 000000008D78: D1D3033E 04FBEBF4
	v_max3_f32 v62, |v246|, |v247|, v62                        // 000000008D80: D1D3033E 04FBEFF6
	v_max3_f32 v62, |v248|, |v249|, v62                        // 000000008D88: D1D3033E 04FBF3F8
	v_max3_f32 v62, |v250|, |v251|, v62                        // 000000008D90: D1D3033E 04FBF7FA
	v_max3_f32 v62, |v252|, |v253|, v62                        // 000000008D98: D1D3033E 04FBFBFC
	v_max3_f32 v62, |v254|, |v255|, v62                        // 000000008DA0: D1D3033E 04FBFFFE
	buffer_load_dwordx4 a[76:79], v36, s[20:23], 0 offen       // 000000008DA8: E05C1000 80854C24
	ds_write_b32 v11, v62 offset:20992                         // 000000008DB0: D81A5200 00003E0B
	v_sub_f32_e32 v63, v14, v18                                // 000000008DB8: 047E250E
	v_cndmask_b32_e64 v63, v63, 0, s[40:41]                    // 000000008DBC: D100003F 00A1013F
	v_mov_b32_e32 v14, v18                                     // 000000008DC4: 7E1C0312
	v_mul_f32_e32 v63, s64, v63                                // 000000008DC8: 0A7E7E40
	v_exp_f32_e32 v63, v63                                     // 000000008DCC: 7E7E413F
	s_waitcnt lgkmcnt(0)                                       // 000000008DD0: BF8CC07F
	s_barrier                                                  // 000000008DD4: BF8A0000
	ds_read_b32 v80, v10 offset:20992                          // 000000008DD8: D86C5200 5000000A
	ds_read_b32 v81, v10 offset:21056                          // 000000008DE0: D86C5240 5100000A
	ds_read_b32 v82, v10 offset:21120                          // 000000008DE8: D86C5280 5200000A
	ds_read_b32 v83, v10 offset:21184                          // 000000008DF0: D86C52C0 5300000A
	ds_read_b32 v84, v10 offset:21248                          // 000000008DF8: D86C5300 5400000A
	ds_read_b32 v85, v10 offset:21312                          // 000000008E00: D86C5340 5500000A
	ds_read_b32 v86, v10 offset:21376                          // 000000008E08: D86C5380 5600000A
	ds_read_b32 v87, v10 offset:21440                          // 000000008E10: D86C53C0 5700000A
	ds_read_b32 v88, v10 offset:21504                          // 000000008E18: D86C5400 5800000A
	ds_read_b32 v89, v10 offset:21568                          // 000000008E20: D86C5440 5900000A
	ds_read_b32 v90, v10 offset:21632                          // 000000008E28: D86C5480 5A00000A
	ds_read_b32 v91, v10 offset:21696                          // 000000008E30: D86C54C0 5B00000A
	ds_read_b32 v92, v10 offset:21760                          // 000000008E38: D86C5500 5C00000A
	ds_read_b32 v93, v10 offset:21824                          // 000000008E40: D86C5540 5D00000A
	ds_read_b32 v94, v10 offset:21888                          // 000000008E48: D86C5580 5E00000A
	ds_read_b32 v95, v10 offset:21952                          // 000000008E50: D86C55C0 5F00000A
	v_mul_f32_e32 v47, v63, v47                                // 000000008E58: 0A5E5F3F
	v_mov_b32_e32 v18, v128                                    // 000000008E5C: 7E240380
	v_add_f32_e32 v18, v129, v18                               // 000000008E60: 02242581
	v_add_f32_e32 v18, v130, v18                               // 000000008E64: 02242582
	v_add_f32_e32 v18, v131, v18                               // 000000008E68: 02242583
	v_add_f32_e32 v18, v132, v18                               // 000000008E6C: 02242584
	v_add_f32_e32 v18, v133, v18                               // 000000008E70: 02242585
	v_add_f32_e32 v18, v134, v18                               // 000000008E74: 02242586
	v_add_f32_e32 v18, v135, v18                               // 000000008E78: 02242587
	v_add_f32_e32 v18, v136, v18                               // 000000008E7C: 02242588
	v_add_f32_e32 v18, v137, v18                               // 000000008E80: 02242589
	v_add_f32_e32 v18, v138, v18                               // 000000008E84: 0224258A
	v_add_f32_e32 v18, v139, v18                               // 000000008E88: 0224258B
	v_add_f32_e32 v18, v140, v18                               // 000000008E8C: 0224258C
	v_add_f32_e32 v18, v141, v18                               // 000000008E90: 0224258D
	v_add_f32_e32 v18, v142, v18                               // 000000008E94: 0224258E
	v_add_f32_e32 v18, v143, v18                               // 000000008E98: 0224258F
	v_add_f32_e32 v47, v18, v47                                // 000000008E9C: 025E5F12
	s_waitcnt lgkmcnt(0)                                       // 000000008EA0: BF8CC07F
	v_max3_f32 v62, |v80|, |v81|, v62                          // 000000008EA4: D1D3033E 04FAA350
	v_max3_f32 v62, |v82|, |v83|, v62                          // 000000008EAC: D1D3033E 04FAA752
	v_max3_f32 v62, |v84|, |v85|, v62                          // 000000008EB4: D1D3033E 04FAAB54
	v_max3_f32 v62, |v86|, |v87|, v62                          // 000000008EBC: D1D3033E 04FAAF56
	v_max3_f32 v62, |v88|, |v89|, v62                          // 000000008EC4: D1D3033E 04FAB358
	v_max3_f32 v62, |v90|, |v91|, v62                          // 000000008ECC: D1D3033E 04FAB75A
	v_max3_f32 v62, |v92|, |v93|, v62                          // 000000008ED4: D1D3033E 04FABB5C
	v_max3_f32 v62, |v94|, |v95|, v62                          // 000000008EDC: D1D3033E 04FABF5E
	s_nop 2                                                    // 000000008EE4: BF800002
	v_rcp_f32_e32 v62, v62                                     // 000000008EE8: 7E7C453E
	s_nop 1                                                    // 000000008EEC: BF800001
	v_mul_f32_e32 v62, 0x42fe0000, v62                         // 000000008EF0: 0A7C7CFF 42FE0000
	v_mul_f32_e32 v128, v62, v240                              // 000000008EF8: 0B01E13E
	v_mul_f32_e32 v129, v62, v241                              // 000000008EFC: 0B03E33E
	v_mul_f32_e32 v130, v62, v242                              // 000000008F00: 0B05E53E
	v_mul_f32_e32 v131, v62, v243                              // 000000008F04: 0B07E73E
	v_mul_f32_e32 v132, v62, v244                              // 000000008F08: 0B09E93E
	v_mul_f32_e32 v133, v62, v245                              // 000000008F0C: 0B0BEB3E
	v_mul_f32_e32 v134, v62, v246                              // 000000008F10: 0B0DED3E
	v_mul_f32_e32 v135, v62, v247                              // 000000008F14: 0B0FEF3E
	v_mul_f32_e32 v136, v62, v248                              // 000000008F18: 0B11F13E
	v_mul_f32_e32 v137, v62, v249                              // 000000008F1C: 0B13F33E
	v_mul_f32_e32 v138, v62, v250                              // 000000008F20: 0B15F53E
	v_mul_f32_e32 v139, v62, v251                              // 000000008F24: 0B17F73E
	v_mul_f32_e32 v140, v62, v252                              // 000000008F28: 0B19F93E
	v_mul_f32_e32 v141, v62, v253                              // 000000008F2C: 0B1BFB3E
	v_mul_f32_e32 v142, v62, v254                              // 000000008F30: 0B1DFD3E
	v_mul_f32_e32 v143, v62, v255                              // 000000008F34: 0B1FFF3E
	v_cvt_i32_f32_e32 v128, v128                               // 000000008F38: 7F001180
	v_cvt_i32_f32_e32 v129, v129                               // 000000008F3C: 7F021181
	v_cvt_i32_f32_e32 v130, v130                               // 000000008F40: 7F041182
	v_cvt_i32_f32_e32 v131, v131                               // 000000008F44: 7F061183
	v_cvt_i32_f32_e32 v132, v132                               // 000000008F48: 7F081184
	v_cvt_i32_f32_e32 v133, v133                               // 000000008F4C: 7F0A1185
	v_cvt_i32_f32_e32 v134, v134                               // 000000008F50: 7F0C1186
	v_cvt_i32_f32_e32 v135, v135                               // 000000008F54: 7F0E1187
	v_cvt_i32_f32_e32 v136, v136                               // 000000008F58: 7F101188
	v_cvt_i32_f32_e32 v137, v137                               // 000000008F5C: 7F121189
	v_cvt_i32_f32_e32 v138, v138                               // 000000008F60: 7F14118A
	v_cvt_i32_f32_e32 v139, v139                               // 000000008F64: 7F16118B
	v_cvt_i32_f32_e32 v140, v140                               // 000000008F68: 7F18118C
	v_cvt_i32_f32_e32 v141, v141                               // 000000008F6C: 7F1A118D
	v_cvt_i32_f32_e32 v142, v142                               // 000000008F70: 7F1C118E
	v_cvt_i32_f32_e32 v143, v143                               // 000000008F74: 7F1E118F
	v_perm_b32 v128, v129, v128, s53                           // 000000008F78: D1ED0080 00D70181
	v_perm_b32 v128, v130, v128, s54                           // 000000008F80: D1ED0080 00DB0182
	v_perm_b32 v128, v131, v128, s55                           // 000000008F88: D1ED0080 00DF0183
	v_perm_b32 v129, v133, v132, s53                           // 000000008F90: D1ED0081 00D70985
	v_perm_b32 v129, v134, v129, s54                           // 000000008F98: D1ED0081 00DB0386
	v_perm_b32 v129, v135, v129, s55                           // 000000008FA0: D1ED0081 00DF0387
	v_perm_b32 v130, v137, v136, s53                           // 000000008FA8: D1ED0082 00D71189
	v_perm_b32 v130, v138, v130, s54                           // 000000008FB0: D1ED0082 00DB058A
	v_perm_b32 v130, v139, v130, s55                           // 000000008FB8: D1ED0082 00DF058B
	v_perm_b32 v131, v141, v140, s53                           // 000000008FC0: D1ED0083 00D7198D
	v_perm_b32 v131, v142, v131, s54                           // 000000008FC8: D1ED0083 00DB078E
	v_perm_b32 v131, v143, v131, s55                           // 000000008FD0: D1ED0083 00DF078F
	ds_write_b32 v13, v128 offset:25088                        // 000000008FD8: D81A6200 0000800D
	ds_write_b32 v13, v129 offset:26112                        // 000000008FE0: D81A6600 0000810D
	ds_write_b32 v13, v130 offset:27136                        // 000000008FE8: D81A6A00 0000820D
	ds_write_b32 v13, v131 offset:28160                        // 000000008FF0: D81A6E00 0000830D
	v_add_f32_e32 v224, v224, v192                             // 000000008FF8: 03C181E0
	v_add_f32_e32 v225, v225, v193                             // 000000008FFC: 03C383E1
	v_add_f32_e32 v226, v226, v194                             // 000000009000: 03C585E2
	v_add_f32_e32 v227, v227, v195                             // 000000009004: 03C787E3
	v_add_f32_e32 v228, v228, v196                             // 000000009008: 03C989E4
	v_add_f32_e32 v229, v229, v197                             // 00000000900C: 03CB8BE5
	v_add_f32_e32 v230, v230, v198                             // 000000009010: 03CD8DE6
	v_add_f32_e32 v231, v231, v199                             // 000000009014: 03CF8FE7
	v_rcp_f32_e32 v58, v62                                     // 000000009018: 7E74453E
	s_waitcnt lgkmcnt(0)                                       // 00000000901C: BF8CC07F
	s_barrier                                                  // 000000009020: BF8A0000
	ds_read_b64 v[128:129], v12 offset:25088                   // 000000009024: D8EC6200 8000000C
	ds_read_b64 v[130:131], v12 offset:25216                   // 00000000902C: D8EC6280 8200000C
	ds_read_b64 v[132:133], v12 offset:26112                   // 000000009034: D8EC6600 8400000C
	ds_read_b64 v[134:135], v12 offset:26240                   // 00000000903C: D8EC6680 8600000C
	ds_read_b64 v[136:137], v12 offset:27136                   // 000000009044: D8EC6A00 8800000C
	ds_read_b64 v[138:139], v12 offset:27264                   // 00000000904C: D8EC6A80 8A00000C
	ds_read_b64 v[140:141], v12 offset:28160                   // 000000009054: D8EC6E00 8C00000C
	ds_read_b64 v[142:143], v12 offset:28288                   // 00000000905C: D8EC6E80 8E00000C
	s_waitcnt vmcnt(15)                                        // 000000009064: BF8C0F7F
	s_waitcnt lgkmcnt(7)                                       // 000000009068: BF8CC77F
	v_mfma_i32_16x16x32_i8 v[192:195], a[96:97], v[128:129], 0 // 00000000906C: D3D700C0 0A030160
	buffer_load_dwordx4 a[80:83], v33, s[20:23], 0 offen offset:1024// 000000009074: E05C1400 80855021
	s_waitcnt lgkmcnt(6)                                       // 00000000907C: BF8CC67F
	v_mfma_i32_16x16x32_i8 v[192:195], a[98:99], v[130:131], v[192:195]// 000000009080: D3D700C0 0F030562
	s_waitcnt lgkmcnt(5)                                       // 000000009088: BF8CC57F
	v_mfma_i32_16x16x32_i8 v[192:195], a[100:101], v[132:133], v[192:195]// 00000000908C: D3D700C0 0F030964
	s_waitcnt lgkmcnt(4)                                       // 000000009094: BF8CC47F
	v_mfma_i32_16x16x32_i8 v[192:195], a[102:103], v[134:135], v[192:195]// 000000009098: D3D700C0 0F030D66
	s_waitcnt lgkmcnt(3)                                       // 0000000090A0: BF8CC37F
	v_mfma_i32_16x16x32_i8 v[192:195], a[104:105], v[136:137], v[192:195]// 0000000090A4: D3D700C0 0F031168
	buffer_load_dwordx4 a[84:87], v34, s[20:23], 0 offen offset:1024// 0000000090AC: E05C1400 80855422
	s_waitcnt lgkmcnt(2)                                       // 0000000090B4: BF8CC27F
	v_mfma_i32_16x16x32_i8 v[192:195], a[106:107], v[138:139], v[192:195]// 0000000090B8: D3D700C0 0F03156A
	s_waitcnt lgkmcnt(1)                                       // 0000000090C0: BF8CC17F
	v_mfma_i32_16x16x32_i8 v[192:195], a[108:109], v[140:141], v[192:195]// 0000000090C4: D3D700C0 0F03196C
	s_waitcnt lgkmcnt(0)                                       // 0000000090CC: BF8CC07F
	v_mfma_i32_16x16x32_i8 v[192:195], a[110:111], v[142:143], v[192:195]// 0000000090D0: D3D700C0 0F031D6E
	v_mfma_i32_16x16x32_i8 v[196:199], a[112:113], v[128:129], 0// 0000000090D8: D3D700C4 0A030170
	buffer_load_dwordx4 a[88:91], v35, s[20:23], 0 offen offset:1024// 0000000090E0: E05C1400 80855823
	v_mfma_i32_16x16x32_i8 v[196:199], a[114:115], v[130:131], v[196:199]// 0000000090E8: D3D700C4 0F130572
	v_mfma_i32_16x16x32_i8 v[196:199], a[116:117], v[132:133], v[196:199]// 0000000090F0: D3D700C4 0F130974
	v_mfma_i32_16x16x32_i8 v[196:199], a[118:119], v[134:135], v[196:199]// 0000000090F8: D3D700C4 0F130D76
	v_mfma_i32_16x16x32_i8 v[196:199], a[120:121], v[136:137], v[196:199]// 000000009100: D3D700C4 0F131178
	buffer_load_dwordx4 a[92:95], v36, s[20:23], 0 offen offset:1024// 000000009108: E05C1400 80855C24
	v_mfma_i32_16x16x32_i8 v[196:199], a[122:123], v[138:139], v[196:199]// 000000009110: D3D700C4 0F13157A
	v_mfma_i32_16x16x32_i8 v[196:199], a[124:125], v[140:141], v[196:199]// 000000009118: D3D700C4 0F13197C
	s_lshr_b32 s57, s70, 4                                     // 000000009120: 8F398446
	s_add_u32 s57, 48, s57                                     // 000000009124: 803939B0
	v_mfma_i32_16x16x32_i8 v[196:199], a[126:127], v[142:143], v[196:199]// 000000009128: D3D700C4 0F131D7E
	s_cmp_ge_u32 s57, s73                                      // 000000009130: BF094939
	s_cselect_b32 s56, 0, s56                                  // 000000009134: 85383880
	v_add_u32_e32 v1, s56, v1                                  // 000000009138: 68020238
	s_addk_i32 s70, 0x100                                      // 00000000913C: B7460100
	s_cmp_lt_i32 s70, s71                                      // 000000009140: BF044746
	s_cbranch_scc0 label_15E7                                  // 000000009144: BF84FA15
	s_branch label_15EA                                        // 000000009148: BF82FA17

000000000000914c <label_1BD3>:
	s_lshr_b32 s60, s71, 4                                     // 00000000914C: 8F3C8447
	s_cmp_eq_i32 s60, s73                                      // 000000009150: BF00493C
	s_cbranch_scc1 label_2222                                  // 000000009154: BF85064C
	s_lshr_b32 s60, s71, 8                                     // 000000009158: 8F3C8847
	s_and_b32 s60, s60, 1                                      // 00000000915C: 863C813C
	s_cmp_eq_i32 s60, 1                                        // 000000009160: BF00813C
	s_cbranch_scc1 label_1EFE                                  // 000000009164: BF850324
	s_waitcnt vmcnt(8) lgkmcnt(0)                              // 000000009168: BF8C0078
	s_barrier                                                  // 00000000916C: BF8A0000
	v_mfma_i32_16x16x32_i8 v[128:131], a[0:1], v[96:97], 0     // 000000009170: D3D70080 0A02C100
	v_mfma_i32_16x16x32_i8 v[128:131], a[2:3], v[98:99], v[128:131]// 000000009178: D3D70080 0E02C502
	v_mfma_i32_16x16x32_i8 v[128:131], a[4:5], v[100:101], v[128:131]// 000000009180: D3D70080 0E02C904
	v_mfma_i32_16x16x32_i8 v[128:131], a[6:7], v[102:103], v[128:131]// 000000009188: D3D70080 0E02CD06
	v_mfma_i32_16x16x32_i8 v[132:135], a[8:9], v[96:97], 0     // 000000009190: D3D70084 0A02C108
	v_mfma_i32_16x16x32_i8 v[132:135], a[10:11], v[98:99], v[132:135]// 000000009198: D3D70084 0E12C50A
	v_mfma_i32_16x16x32_i8 v[132:135], a[12:13], v[100:101], v[132:135]// 0000000091A0: D3D70084 0E12C90C
	v_mfma_i32_16x16x32_i8 v[132:135], a[14:15], v[102:103], v[132:135]// 0000000091A8: D3D70084 0E12CD0E
	v_mfma_i32_16x16x32_i8 v[136:139], a[16:17], v[96:97], 0   // 0000000091B0: D3D70088 0A02C110
	v_mfma_i32_16x16x32_i8 v[136:139], a[18:19], v[98:99], v[136:139]// 0000000091B8: D3D70088 0E22C512
	v_mfma_i32_16x16x32_i8 v[136:139], a[20:21], v[100:101], v[136:139]// 0000000091C0: D3D70088 0E22C914
	v_mfma_i32_16x16x32_i8 v[136:139], a[22:23], v[102:103], v[136:139]// 0000000091C8: D3D70088 0E22CD16
	v_mfma_i32_16x16x32_i8 v[140:143], a[24:25], v[96:97], 0   // 0000000091D0: D3D7008C 0A02C118
	v_mfma_i32_16x16x32_i8 v[140:143], a[26:27], v[98:99], v[140:143]// 0000000091D8: D3D7008C 0E32C51A
	v_mfma_i32_16x16x32_i8 v[140:143], a[28:29], v[100:101], v[140:143]// 0000000091E0: D3D7008C 0E32C91C
	v_mfma_i32_16x16x32_i8 v[140:143], a[30:31], v[102:103], v[140:143]// 0000000091E8: D3D7008C 0E32CD1E
	v_mov_b32_dpp v41, v52 row_shr:4 row_mask:0xf bank_mask:0xf// 0000000091F0: 7E5202FA FF011434
	v_mov_b32_dpp v42, v52 row_shl:4 row_mask:0xf bank_mask:0xf// 0000000091F8: 7E5402FA FF010434
	v_cndmask_b32_e64 v248, v52, v41, s[44:45]                 // 000000009200: D10000F8 00B25334
	v_cndmask_b32_e64 v249, v42, v52, s[44:45]                 // 000000009208: D10000F9 00B2692A
	v_mov_b32_dpp v41, v248 row_shr:8 row_mask:0xf bank_mask:0xf// 000000009210: 7E5202FA FF0118F8
	v_mov_b32_dpp v42, v248 row_shl:8 row_mask:0xf bank_mask:0xf// 000000009218: 7E5402FA FF0108F8
	v_mov_b32_dpp v43, v249 row_shr:8 row_mask:0xf bank_mask:0xf// 000000009220: 7E5602FA FF0118F9
	v_mov_b32_dpp v44, v249 row_shl:8 row_mask:0xf bank_mask:0xf// 000000009228: 7E5802FA FF0108F9
	v_mov_b32_e32 v45, v248                                    // 000000009230: 7E5A03F8
	v_mov_b32_e32 v46, v249                                    // 000000009234: 7E5C03F9
	v_cndmask_b32_e64 v248, v45, v41, s[42:43]                 // 000000009238: D10000F8 00AA532D
	v_cndmask_b32_e64 v250, v45, v42, s[78:79]                 // 000000009240: D10000FA 013A552D
	v_cndmask_b32_e64 v249, v46, v43, s[42:43]                 // 000000009248: D10000F9 00AA572E
	v_cndmask_b32_e64 v251, v46, v44, s[78:79]                 // 000000009250: D10000FB 013A592E
	v_mov_b32_dpp v41, v72 row_shr:4 row_mask:0xf bank_mask:0xf// 000000009258: 7E5202FA FF011448
	v_mov_b32_dpp v42, v72 row_shl:4 row_mask:0xf bank_mask:0xf// 000000009260: 7E5402FA FF010448
	v_cndmask_b32_e64 v252, v72, v41, s[44:45]                 // 000000009268: D10000FC 00B25348
	v_cndmask_b32_e64 v253, v42, v72, s[44:45]                 // 000000009270: D10000FD 00B2912A
	v_mov_b32_dpp v41, v252 row_shr:8 row_mask:0xf bank_mask:0xf// 000000009278: 7E5202FA FF0118FC
	v_mov_b32_dpp v42, v252 row_shl:8 row_mask:0xf bank_mask:0xf// 000000009280: 7E5402FA FF0108FC
	v_mov_b32_dpp v43, v253 row_shr:8 row_mask:0xf bank_mask:0xf// 000000009288: 7E5602FA FF0118FD
	v_mov_b32_dpp v44, v253 row_shl:8 row_mask:0xf bank_mask:0xf// 000000009290: 7E5802FA FF0108FD
	v_mov_b32_e32 v45, v252                                    // 000000009298: 7E5A03FC
	v_mov_b32_e32 v46, v253                                    // 00000000929C: 7E5C03FD
	v_cndmask_b32_e64 v252, v45, v41, s[42:43]                 // 0000000092A0: D10000FC 00AA532D
	v_cndmask_b32_e64 v254, v45, v42, s[78:79]                 // 0000000092A8: D10000FE 013A552D
	v_cndmask_b32_e64 v253, v46, v43, s[42:43]                 // 0000000092B0: D10000FD 00AA572E
	v_cndmask_b32_e64 v255, v46, v44, s[78:79]                 // 0000000092B8: D10000FF 013A592E
	v_cvt_f32_i32_e32 v128, v128                               // 0000000092C0: 7F000B80
	v_cvt_f32_i32_e32 v129, v129                               // 0000000092C4: 7F020B81
	v_cvt_f32_i32_e32 v130, v130                               // 0000000092C8: 7F040B82
	v_cvt_f32_i32_e32 v131, v131                               // 0000000092CC: 7F060B83
	v_cvt_f32_i32_e32 v132, v132                               // 0000000092D0: 7F080B84
	v_cvt_f32_i32_e32 v133, v133                               // 0000000092D4: 7F0A0B85
	v_cvt_f32_i32_e32 v134, v134                               // 0000000092D8: 7F0C0B86
	v_cvt_f32_i32_e32 v135, v135                               // 0000000092DC: 7F0E0B87
	v_cvt_f32_i32_e32 v136, v136                               // 0000000092E0: 7F100B88
	v_cvt_f32_i32_e32 v137, v137                               // 0000000092E4: 7F120B89
	v_cvt_f32_i32_e32 v138, v138                               // 0000000092E8: 7F140B8A
	v_cvt_f32_i32_e32 v139, v139                               // 0000000092EC: 7F160B8B
	v_cvt_f32_i32_e32 v140, v140                               // 0000000092F0: 7F180B8C
	v_cvt_f32_i32_e32 v141, v141                               // 0000000092F4: 7F1A0B8D
	v_cvt_f32_i32_e32 v142, v142                               // 0000000092F8: 7F1C0B8E
	v_cvt_f32_i32_e32 v143, v143                               // 0000000092FC: 7F1E0B8F
	v_mul_f32_e32 v128, v54, v128                              // 000000009300: 0B010136
	v_mul_f32_e32 v129, v54, v129                              // 000000009304: 0B030336
	v_mul_f32_e32 v130, v54, v130                              // 000000009308: 0B050536
	v_mul_f32_e32 v131, v54, v131                              // 00000000930C: 0B070736
	v_mul_f32_e32 v132, v54, v132                              // 000000009310: 0B090936
	v_mul_f32_e32 v133, v54, v133                              // 000000009314: 0B0B0B36
	v_mul_f32_e32 v134, v54, v134                              // 000000009318: 0B0D0D36
	v_mul_f32_e32 v135, v54, v135                              // 00000000931C: 0B0F0F36
	v_mul_f32_e32 v136, v54, v136                              // 000000009320: 0B111136
	v_mul_f32_e32 v137, v54, v137                              // 000000009324: 0B131336
	v_mul_f32_e32 v138, v54, v138                              // 000000009328: 0B151536
	v_mul_f32_e32 v139, v54, v139                              // 00000000932C: 0B171736
	v_mul_f32_e32 v140, v54, v140                              // 000000009330: 0B191936
	v_mul_f32_e32 v141, v54, v141                              // 000000009334: 0B1B1B36
	v_mul_f32_e32 v142, v54, v142                              // 000000009338: 0B1D1D36
	v_mul_f32_e32 v143, v54, v143                              // 00000000933C: 0B1F1F36
	v_mul_f32_dpp v128, v248, v128 quad_perm:[0,0,0,0] row_mask:0xf bank_mask:0xf// 000000009340: 0B0100FA FF0000F8
	v_mul_f32_dpp v129, v248, v129 quad_perm:[1,1,1,1] row_mask:0xf bank_mask:0xf// 000000009348: 0B0302FA FF0055F8
	v_mul_f32_dpp v130, v248, v130 quad_perm:[2,2,2,2] row_mask:0xf bank_mask:0xf// 000000009350: 0B0504FA FF00AAF8
	v_mul_f32_dpp v131, v248, v131 quad_perm:[3,3,3,3] row_mask:0xf bank_mask:0xf// 000000009358: 0B0706FA FF00FFF8
	v_mul_f32_dpp v132, v249, v132 quad_perm:[0,0,0,0] row_mask:0xf bank_mask:0xf// 000000009360: 0B0908FA FF0000F9
	v_mul_f32_dpp v133, v249, v133 quad_perm:[1,1,1,1] row_mask:0xf bank_mask:0xf// 000000009368: 0B0B0AFA FF0055F9
	v_mul_f32_dpp v134, v249, v134 quad_perm:[2,2,2,2] row_mask:0xf bank_mask:0xf// 000000009370: 0B0D0CFA FF00AAF9
	v_mul_f32_dpp v135, v249, v135 quad_perm:[3,3,3,3] row_mask:0xf bank_mask:0xf// 000000009378: 0B0F0EFA FF00FFF9
	v_mul_f32_dpp v136, v250, v136 quad_perm:[0,0,0,0] row_mask:0xf bank_mask:0xf// 000000009380: 0B1110FA FF0000FA
	v_mul_f32_dpp v137, v250, v137 quad_perm:[1,1,1,1] row_mask:0xf bank_mask:0xf// 000000009388: 0B1312FA FF0055FA
	v_mul_f32_dpp v138, v250, v138 quad_perm:[2,2,2,2] row_mask:0xf bank_mask:0xf// 000000009390: 0B1514FA FF00AAFA
	v_mul_f32_dpp v139, v250, v139 quad_perm:[3,3,3,3] row_mask:0xf bank_mask:0xf// 000000009398: 0B1716FA FF00FFFA
	v_mul_f32_dpp v140, v251, v140 quad_perm:[0,0,0,0] row_mask:0xf bank_mask:0xf// 0000000093A0: 0B1918FA FF0000FB
	v_mul_f32_dpp v141, v251, v141 quad_perm:[1,1,1,1] row_mask:0xf bank_mask:0xf// 0000000093A8: 0B1B1AFA FF0055FB
	v_mul_f32_dpp v142, v251, v142 quad_perm:[2,2,2,2] row_mask:0xf bank_mask:0xf// 0000000093B0: 0B1D1CFA FF00AAFB
	v_mul_f32_dpp v143, v251, v143 quad_perm:[3,3,3,3] row_mask:0xf bank_mask:0xf// 0000000093B8: 0B1F1EFA FF00FFFB
	s_cmp_le_i32 s90, s89                                      // 0000000093C0: BF05595A
	s_cbranch_scc1 label_1CE5                                  // 0000000093C4: BF850073
	v_mov_b32_e32 v69, 0xff800000                              // 0000000093C8: 7E8A02FF FF800000
	s_mov_b32 s60, s90                                         // 0000000093D0: BEBC005A
	s_add_u32 s61, s89, 0xff                                   // 0000000093D4: 803DFF59 000000FF
	v_mov_b32_e32 v41, s61                                     // 0000000093DC: 7E52023D
	v_lshrrev_b32_e32 v240, 4, v0                              // 0000000093E0: 21E00084
	v_mul_i32_i24_e32 v240, 4, v240                            // 0000000093E4: 0DE1E084
	v_add_u32_e32 v240, s60, v240                              // 0000000093E8: 69E1E03C
	v_and_b32_e32 v42, 15, v0                                  // 0000000093EC: 2654008F
	v_lshrrev_b32_e32 v42, 3, v42                              // 0000000093F0: 20545483
	s_mov_b32 s61, 0                                           // 0000000093F4: BEBD0080
	s_mul_i32 s60, 16, s7                                      // 0000000093F8: 923C0790
	v_add_u32_e32 v42, s61, v42                                // 0000000093FC: 6854543D
	v_sub_u32_e32 v240, v240, v42                              // 000000009400: 6BE055F0
	v_add_u32_e32 v240, s60, v240                              // 000000009404: 69E1E03C
	v_add_u32_e32 v241, 1, v240                                // 000000009408: 69E3E081
	v_add_u32_e32 v242, 2, v240                                // 00000000940C: 69E5E082
	v_add_u32_e32 v243, 3, v240                                // 000000009410: 69E7E083
	v_cmp_le_u32_e64 s[40:41], v240, v41                       // 000000009414: D0CB0028 000253F0
	v_add_u32_e32 v240, 64, v240                               // 00000000941C: 69E1E0C0
	s_nop 0                                                    // 000000009420: BF800000
	v_cndmask_b32_e64 v128, v69, v128, s[40:41]                // 000000009424: D1000080 00A30145
	v_cmp_le_u32_e64 s[40:41], v241, v41                       // 00000000942C: D0CB0028 000253F1
	v_add_u32_e32 v241, 64, v241                               // 000000009434: 69E3E2C0
	s_nop 0                                                    // 000000009438: BF800000
	v_cndmask_b32_e64 v129, v69, v129, s[40:41]                // 00000000943C: D1000081 00A30345
	v_cmp_le_u32_e64 s[40:41], v242, v41                       // 000000009444: D0CB0028 000253F2
	v_add_u32_e32 v242, 64, v242                               // 00000000944C: 69E5E4C0
	s_nop 0                                                    // 000000009450: BF800000
	v_cndmask_b32_e64 v130, v69, v130, s[40:41]                // 000000009454: D1000082 00A30545
	v_cmp_le_u32_e64 s[40:41], v243, v41                       // 00000000945C: D0CB0028 000253F3
	v_add_u32_e32 v243, 64, v243                               // 000000009464: 69E7E6C0
	s_nop 0                                                    // 000000009468: BF800000
	v_cndmask_b32_e64 v131, v69, v131, s[40:41]                // 00000000946C: D1000083 00A30745
	v_cmp_le_u32_e64 s[40:41], v240, v41                       // 000000009474: D0CB0028 000253F0
	v_add_u32_e32 v240, 64, v240                               // 00000000947C: 69E1E0C0
	s_nop 0                                                    // 000000009480: BF800000
	v_cndmask_b32_e64 v132, v69, v132, s[40:41]                // 000000009484: D1000084 00A30945
	v_cmp_le_u32_e64 s[40:41], v241, v41                       // 00000000948C: D0CB0028 000253F1
	v_add_u32_e32 v241, 64, v241                               // 000000009494: 69E3E2C0
	s_nop 0                                                    // 000000009498: BF800000
	v_cndmask_b32_e64 v133, v69, v133, s[40:41]                // 00000000949C: D1000085 00A30B45
	v_cmp_le_u32_e64 s[40:41], v242, v41                       // 0000000094A4: D0CB0028 000253F2
	v_add_u32_e32 v242, 64, v242                               // 0000000094AC: 69E5E4C0
	s_nop 0                                                    // 0000000094B0: BF800000
	v_cndmask_b32_e64 v134, v69, v134, s[40:41]                // 0000000094B4: D1000086 00A30D45
	v_cmp_le_u32_e64 s[40:41], v243, v41                       // 0000000094BC: D0CB0028 000253F3
	v_add_u32_e32 v243, 64, v243                               // 0000000094C4: 69E7E6C0
	s_nop 0                                                    // 0000000094C8: BF800000
	v_cndmask_b32_e64 v135, v69, v135, s[40:41]                // 0000000094CC: D1000087 00A30F45
	v_cmp_le_u32_e64 s[40:41], v240, v41                       // 0000000094D4: D0CB0028 000253F0
	v_add_u32_e32 v240, 64, v240                               // 0000000094DC: 69E1E0C0
	s_nop 0                                                    // 0000000094E0: BF800000
	v_cndmask_b32_e64 v136, v69, v136, s[40:41]                // 0000000094E4: D1000088 00A31145
	v_cmp_le_u32_e64 s[40:41], v241, v41                       // 0000000094EC: D0CB0028 000253F1
	v_add_u32_e32 v241, 64, v241                               // 0000000094F4: 69E3E2C0
	s_nop 0                                                    // 0000000094F8: BF800000
	v_cndmask_b32_e64 v137, v69, v137, s[40:41]                // 0000000094FC: D1000089 00A31345
	v_cmp_le_u32_e64 s[40:41], v242, v41                       // 000000009504: D0CB0028 000253F2
	v_add_u32_e32 v242, 64, v242                               // 00000000950C: 69E5E4C0
	s_nop 0                                                    // 000000009510: BF800000
	v_cndmask_b32_e64 v138, v69, v138, s[40:41]                // 000000009514: D100008A 00A31545
	v_cmp_le_u32_e64 s[40:41], v243, v41                       // 00000000951C: D0CB0028 000253F3
	v_add_u32_e32 v243, 64, v243                               // 000000009524: 69E7E6C0
	s_nop 0                                                    // 000000009528: BF800000
	v_cndmask_b32_e64 v139, v69, v139, s[40:41]                // 00000000952C: D100008B 00A31745
	v_cmp_le_u32_e64 s[40:41], v240, v41                       // 000000009534: D0CB0028 000253F0
	v_add_u32_e32 v240, 64, v240                               // 00000000953C: 69E1E0C0
	s_nop 0                                                    // 000000009540: BF800000
	v_cndmask_b32_e64 v140, v69, v140, s[40:41]                // 000000009544: D100008C 00A31945
	v_cmp_le_u32_e64 s[40:41], v241, v41                       // 00000000954C: D0CB0028 000253F1
	v_add_u32_e32 v241, 64, v241                               // 000000009554: 69E3E2C0
	s_nop 0                                                    // 000000009558: BF800000
	v_cndmask_b32_e64 v141, v69, v141, s[40:41]                // 00000000955C: D100008D 00A31B45
	v_cmp_le_u32_e64 s[40:41], v242, v41                       // 000000009564: D0CB0028 000253F2
	v_add_u32_e32 v242, 64, v242                               // 00000000956C: 69E5E4C0
	s_nop 0                                                    // 000000009570: BF800000
	v_cndmask_b32_e64 v142, v69, v142, s[40:41]                // 000000009574: D100008E 00A31D45
	v_cmp_le_u32_e64 s[40:41], v243, v41                       // 00000000957C: D0CB0028 000253F3
	v_add_u32_e32 v243, 64, v243                               // 000000009584: 69E7E6C0
	s_nop 0                                                    // 000000009588: BF800000
	v_cndmask_b32_e64 v143, v69, v143, s[40:41]                // 00000000958C: D100008F 00A31F45

0000000000009594 <label_1CE5>:
	s_add_u32 s90, s91, s90                                    // 000000009594: 805A5A5B
	s_and_b32 s60, s72, 0xff                                   // 000000009598: 863CFF48 000000FF
	v_mov_b32_e32 v42, s60                                     // 0000000095A0: 7E54023C
	v_lshrrev_b32_e32 v240, 4, v0                              // 0000000095A4: 21E00084
	v_mul_i32_i24_e32 v240, 4, v240                            // 0000000095A8: 0DE1E084
	s_mul_i32 s60, s7, 16                                      // 0000000095AC: 923C9007
	v_add_u32_e32 v240, s60, v240                              // 0000000095B0: 69E1E03C
	v_add_u32_e32 v241, 1, v240                                // 0000000095B4: 69E3E081
	v_add_u32_e32 v242, 2, v240                                // 0000000095B8: 69E5E082
	v_add_u32_e32 v243, 3, v240                                // 0000000095BC: 69E7E083
	v_mov_b32_e32 v41, 0xff800000                              // 0000000095C0: 7E5202FF FF800000
	v_cmp_lt_u32_e64 s[40:41], v240, v42                       // 0000000095C8: D0C90028 000255F0
	v_add_u32_e32 v240, 64, v240                               // 0000000095D0: 69E1E0C0
	s_nop 0                                                    // 0000000095D4: BF800000
	v_cndmask_b32_e64 v128, v41, v128, s[40:41]                // 0000000095D8: D1000080 00A30129
	v_cmp_lt_u32_e64 s[40:41], v241, v42                       // 0000000095E0: D0C90028 000255F1
	v_add_u32_e32 v241, 64, v241                               // 0000000095E8: 69E3E2C0
	s_nop 0                                                    // 0000000095EC: BF800000
	v_cndmask_b32_e64 v129, v41, v129, s[40:41]                // 0000000095F0: D1000081 00A30329
	v_cmp_lt_u32_e64 s[40:41], v242, v42                       // 0000000095F8: D0C90028 000255F2
	v_add_u32_e32 v242, 64, v242                               // 000000009600: 69E5E4C0
	s_nop 0                                                    // 000000009604: BF800000
	v_cndmask_b32_e64 v130, v41, v130, s[40:41]                // 000000009608: D1000082 00A30529
	v_cmp_lt_u32_e64 s[40:41], v243, v42                       // 000000009610: D0C90028 000255F3
	v_add_u32_e32 v243, 64, v243                               // 000000009618: 69E7E6C0
	s_nop 0                                                    // 00000000961C: BF800000
	v_cndmask_b32_e64 v131, v41, v131, s[40:41]                // 000000009620: D1000083 00A30729
	v_cmp_lt_u32_e64 s[40:41], v240, v42                       // 000000009628: D0C90028 000255F0
	v_add_u32_e32 v240, 64, v240                               // 000000009630: 69E1E0C0
	s_nop 0                                                    // 000000009634: BF800000
	v_cndmask_b32_e64 v132, v41, v132, s[40:41]                // 000000009638: D1000084 00A30929
	v_cmp_lt_u32_e64 s[40:41], v241, v42                       // 000000009640: D0C90028 000255F1
	v_add_u32_e32 v241, 64, v241                               // 000000009648: 69E3E2C0
	s_nop 0                                                    // 00000000964C: BF800000
	v_cndmask_b32_e64 v133, v41, v133, s[40:41]                // 000000009650: D1000085 00A30B29
	v_cmp_lt_u32_e64 s[40:41], v242, v42                       // 000000009658: D0C90028 000255F2
	v_add_u32_e32 v242, 64, v242                               // 000000009660: 69E5E4C0
	s_nop 0                                                    // 000000009664: BF800000
	v_cndmask_b32_e64 v134, v41, v134, s[40:41]                // 000000009668: D1000086 00A30D29
	v_cmp_lt_u32_e64 s[40:41], v243, v42                       // 000000009670: D0C90028 000255F3
	v_add_u32_e32 v243, 64, v243                               // 000000009678: 69E7E6C0
	s_nop 0                                                    // 00000000967C: BF800000
	v_cndmask_b32_e64 v135, v41, v135, s[40:41]                // 000000009680: D1000087 00A30F29
	v_cmp_lt_u32_e64 s[40:41], v240, v42                       // 000000009688: D0C90028 000255F0
	v_add_u32_e32 v240, 64, v240                               // 000000009690: 69E1E0C0
	s_nop 0                                                    // 000000009694: BF800000
	v_cndmask_b32_e64 v136, v41, v136, s[40:41]                // 000000009698: D1000088 00A31129
	v_cmp_lt_u32_e64 s[40:41], v241, v42                       // 0000000096A0: D0C90028 000255F1
	v_add_u32_e32 v241, 64, v241                               // 0000000096A8: 69E3E2C0
	s_nop 0                                                    // 0000000096AC: BF800000
	v_cndmask_b32_e64 v137, v41, v137, s[40:41]                // 0000000096B0: D1000089 00A31329
	v_cmp_lt_u32_e64 s[40:41], v242, v42                       // 0000000096B8: D0C90028 000255F2
	v_add_u32_e32 v242, 64, v242                               // 0000000096C0: 69E5E4C0
	s_nop 0                                                    // 0000000096C4: BF800000
	v_cndmask_b32_e64 v138, v41, v138, s[40:41]                // 0000000096C8: D100008A 00A31529
	v_cmp_lt_u32_e64 s[40:41], v243, v42                       // 0000000096D0: D0C90028 000255F3
	v_add_u32_e32 v243, 64, v243                               // 0000000096D8: 69E7E6C0
	s_nop 0                                                    // 0000000096DC: BF800000
	v_cndmask_b32_e64 v139, v41, v139, s[40:41]                // 0000000096E0: D100008B 00A31729
	v_cmp_lt_u32_e64 s[40:41], v240, v42                       // 0000000096E8: D0C90028 000255F0
	v_add_u32_e32 v240, 64, v240                               // 0000000096F0: 69E1E0C0
	s_nop 0                                                    // 0000000096F4: BF800000
	v_cndmask_b32_e64 v140, v41, v140, s[40:41]                // 0000000096F8: D100008C 00A31929
	v_cmp_lt_u32_e64 s[40:41], v241, v42                       // 000000009700: D0C90028 000255F1
	v_add_u32_e32 v241, 64, v241                               // 000000009708: 69E3E2C0
	s_nop 0                                                    // 00000000970C: BF800000
	v_cndmask_b32_e64 v141, v41, v141, s[40:41]                // 000000009710: D100008D 00A31B29
	v_cmp_lt_u32_e64 s[40:41], v242, v42                       // 000000009718: D0C90028 000255F2
	v_add_u32_e32 v242, 64, v242                               // 000000009720: 69E5E4C0
	s_nop 0                                                    // 000000009724: BF800000
	v_cndmask_b32_e64 v142, v41, v142, s[40:41]                // 000000009728: D100008E 00A31D29
	v_cmp_lt_u32_e64 s[40:41], v243, v42                       // 000000009730: D0C90028 000255F3
	v_add_u32_e32 v243, 64, v243                               // 000000009738: 69E7E6C0
	s_nop 0                                                    // 00000000973C: BF800000
	v_cndmask_b32_e64 v143, v41, v143, s[40:41]                // 000000009740: D100008F 00A31F29
	v_mov_b32_e32 v62, v128                                    // 000000009748: 7E7C0380
	v_max3_f32 v62, v128, v129, v62                            // 00000000974C: D1D3003E 04FB0380
	v_max3_f32 v62, v130, v131, v62                            // 000000009754: D1D3003E 04FB0782
	v_max3_f32 v62, v132, v133, v62                            // 00000000975C: D1D3003E 04FB0B84
	v_max3_f32 v62, v134, v135, v62                            // 000000009764: D1D3003E 04FB0F86
	v_max3_f32 v62, v136, v137, v62                            // 00000000976C: D1D3003E 04FB1388
	v_max3_f32 v62, v138, v139, v62                            // 000000009774: D1D3003E 04FB178A
	v_max3_f32 v62, v140, v141, v62                            // 00000000977C: D1D3003E 04FB1B8C
	v_max3_f32 v62, v142, v143, v62                            // 000000009784: D1D3003E 04FB1F8E
	ds_write_b32 v11, v62 offset:16896                         // 00000000978C: D81A4200 00003E0B
	v_mul_u32_u24_dpp v41, v20, v68 row_newbcast:1 row_mask:0xf bank_mask:0xf// 000000009794: 105288FA FF015114
	v_mul_u32_u24_dpp v42, v20, v68 row_newbcast:5 row_mask:0xf bank_mask:0xf// 00000000979C: 105488FA FF015514
	v_mul_u32_u24_dpp v43, v20, v68 row_newbcast:9 row_mask:0xf bank_mask:0xf// 0000000097A4: 105688FA FF015914
	v_mul_u32_u24_dpp v44, v20, v68 row_newbcast:13 row_mask:0xf bank_mask:0xf// 0000000097AC: 105888FA FF015D14
	v_add_u32_e32 v37, v41, v7                                 // 0000000097B4: 684A0F29
	v_add_u32_e32 v38, v42, v7                                 // 0000000097B8: 684C0F2A
	v_add_u32_e32 v39, v43, v7                                 // 0000000097BC: 684E0F2B
	v_add_u32_e32 v40, v44, v7                                 // 0000000097C0: 68500F2C
	v_mul_f32_e32 v224, v63, v224                              // 0000000097C4: 0BC1C13F
	v_mul_f32_e32 v225, v63, v225                              // 0000000097C8: 0BC3C33F
	v_mul_f32_e32 v226, v63, v226                              // 0000000097CC: 0BC5C53F
	v_mul_f32_e32 v227, v63, v227                              // 0000000097D0: 0BC7C73F
	v_mul_f32_e32 v228, v63, v228                              // 0000000097D4: 0BC9C93F
	v_mul_f32_e32 v229, v63, v229                              // 0000000097D8: 0BCBCB3F
	v_mul_f32_e32 v230, v63, v230                              // 0000000097DC: 0BCDCD3F
	v_mul_f32_e32 v231, v63, v231                              // 0000000097E0: 0BCFCF3F
	s_waitcnt lgkmcnt(0)                                       // 0000000097E4: BF8CC07F
	s_barrier                                                  // 0000000097E8: BF8A0000
	ds_read_b32 v80, v10 offset:16896                          // 0000000097EC: D86C4200 5000000A
	ds_read_b32 v81, v10 offset:16960                          // 0000000097F4: D86C4240 5100000A
	ds_read_b32 v82, v10 offset:17024                          // 0000000097FC: D86C4280 5200000A
	ds_read_b32 v83, v10 offset:17088                          // 000000009804: D86C42C0 5300000A
	ds_read_b32 v84, v10 offset:17152                          // 00000000980C: D86C4300 5400000A
	ds_read_b32 v85, v10 offset:17216                          // 000000009814: D86C4340 5500000A
	ds_read_b32 v86, v10 offset:17280                          // 00000000981C: D86C4380 5600000A
	ds_read_b32 v87, v10 offset:17344                          // 000000009824: D86C43C0 5700000A
	ds_read_b32 v88, v10 offset:17408                          // 00000000982C: D86C4400 5800000A
	ds_read_b32 v89, v10 offset:17472                          // 000000009834: D86C4440 5900000A
	ds_read_b32 v90, v10 offset:17536                          // 00000000983C: D86C4480 5A00000A
	ds_read_b32 v91, v10 offset:17600                          // 000000009844: D86C44C0 5B00000A
	ds_read_b32 v92, v10 offset:17664                          // 00000000984C: D86C4500 5C00000A
	ds_read_b32 v93, v10 offset:17728                          // 000000009854: D86C4540 5D00000A
	ds_read_b32 v94, v10 offset:17792                          // 00000000985C: D86C4580 5E00000A
	ds_read_b32 v95, v10 offset:17856                          // 000000009864: D86C45C0 5F00000A
	v_cvt_f32_i32_e32 v192, v192                               // 00000000986C: 7F800BC0
	v_cvt_f32_i32_e32 v193, v193                               // 000000009870: 7F820BC1
	v_cvt_f32_i32_e32 v194, v194                               // 000000009874: 7F840BC2
	v_cvt_f32_i32_e32 v195, v195                               // 000000009878: 7F860BC3
	v_cvt_f32_i32_e32 v196, v196                               // 00000000987C: 7F880BC4
	v_cvt_f32_i32_e32 v197, v197                               // 000000009880: 7F8A0BC5
	v_cvt_f32_i32_e32 v198, v198                               // 000000009884: 7F8C0BC6
	v_cvt_f32_i32_e32 v199, v199                               // 000000009888: 7F8E0BC7
	v_mul_f32_e32 v192, v58, v192                              // 00000000988C: 0B81813A
	v_mul_f32_e32 v193, v58, v193                              // 000000009890: 0B83833A
	v_mul_f32_e32 v194, v58, v194                              // 000000009894: 0B85853A
	v_mul_f32_e32 v195, v58, v195                              // 000000009898: 0B87873A
	v_mul_f32_e32 v196, v58, v196                              // 00000000989C: 0B89893A
	v_mul_f32_e32 v197, v58, v197                              // 0000000098A0: 0B8B8B3A
	v_mul_f32_e32 v198, v58, v198                              // 0000000098A4: 0B8D8D3A
	v_mul_f32_e32 v199, v58, v199                              // 0000000098A8: 0B8F8F3A
	s_waitcnt lgkmcnt(0)                                       // 0000000098AC: BF8CC07F
	v_max3_f32 v62, v80, v81, v62                              // 0000000098B0: D1D3003E 04FAA350
	v_max3_f32 v62, v82, v83, v62                              // 0000000098B8: D1D3003E 04FAA752
	v_max3_f32 v62, v84, v85, v62                              // 0000000098C0: D1D3003E 04FAAB54
	v_max3_f32 v62, v86, v87, v62                              // 0000000098C8: D1D3003E 04FAAF56
	v_max3_f32 v62, v88, v89, v62                              // 0000000098D0: D1D3003E 04FAB358
	v_max3_f32 v62, v90, v91, v62                              // 0000000098D8: D1D3003E 04FAB75A
	v_max3_f32 v62, v92, v93, v62                              // 0000000098E0: D1D3003E 04FABB5C
	v_max3_f32 v62, v94, v95, v62                              // 0000000098E8: D1D3003E 04FABF5E
	v_mov_b32_e32 v41, 0xff800000                              // 0000000098F0: 7E5202FF FF800000
	v_cmp_eq_u32_e64 s[40:41], v41, v14                        // 0000000098F8: D0CA0028 00021D29
	s_nop 1                                                    // 000000009900: BF800001
	v_max_f32_e32 v18, v62, v14                                // 000000009904: 16241D3E
	v_mul_f32_e32 v67, s64, v18                                // 000000009908: 0A862440
	v_fma_f32 v128, v128, s64, -v67                            // 00000000990C: D1CB0080 850C8180
	v_fma_f32 v129, v129, s64, -v67                            // 000000009914: D1CB0081 850C8181
	v_fma_f32 v130, v130, s64, -v67                            // 00000000991C: D1CB0082 850C8182
	v_fma_f32 v131, v131, s64, -v67                            // 000000009924: D1CB0083 850C8183
	v_fma_f32 v132, v132, s64, -v67                            // 00000000992C: D1CB0084 850C8184
	v_fma_f32 v133, v133, s64, -v67                            // 000000009934: D1CB0085 850C8185
	v_fma_f32 v134, v134, s64, -v67                            // 00000000993C: D1CB0086 850C8186
	v_fma_f32 v135, v135, s64, -v67                            // 000000009944: D1CB0087 850C8187
	v_fma_f32 v136, v136, s64, -v67                            // 00000000994C: D1CB0088 850C8188
	v_fma_f32 v137, v137, s64, -v67                            // 000000009954: D1CB0089 850C8189
	v_fma_f32 v138, v138, s64, -v67                            // 00000000995C: D1CB008A 850C818A
	v_fma_f32 v139, v139, s64, -v67                            // 000000009964: D1CB008B 850C818B
	v_fma_f32 v140, v140, s64, -v67                            // 00000000996C: D1CB008C 850C818C
	v_fma_f32 v141, v141, s64, -v67                            // 000000009974: D1CB008D 850C818D
	v_fma_f32 v142, v142, s64, -v67                            // 00000000997C: D1CB008E 850C818E
	v_fma_f32 v143, v143, s64, -v67                            // 000000009984: D1CB008F 850C818F
	v_exp_f32_e32 v128, v128                                   // 00000000998C: 7F004180
	v_exp_f32_e32 v129, v129                                   // 000000009990: 7F024181
	v_exp_f32_e32 v130, v130                                   // 000000009994: 7F044182
	v_exp_f32_e32 v131, v131                                   // 000000009998: 7F064183
	v_exp_f32_e32 v132, v132                                   // 00000000999C: 7F084184
	v_exp_f32_e32 v133, v133                                   // 0000000099A0: 7F0A4185
	v_exp_f32_e32 v134, v134                                   // 0000000099A4: 7F0C4186
	v_exp_f32_e32 v135, v135                                   // 0000000099A8: 7F0E4187
	v_exp_f32_e32 v136, v136                                   // 0000000099AC: 7F104188
	v_exp_f32_e32 v137, v137                                   // 0000000099B0: 7F124189
	v_exp_f32_e32 v138, v138                                   // 0000000099B4: 7F14418A
	v_exp_f32_e32 v139, v139                                   // 0000000099B8: 7F16418B
	v_exp_f32_e32 v140, v140                                   // 0000000099BC: 7F18418C
	v_exp_f32_e32 v141, v141                                   // 0000000099C0: 7F1A418D
	v_exp_f32_e32 v142, v142                                   // 0000000099C4: 7F1C418E
	v_exp_f32_e32 v143, v143                                   // 0000000099C8: 7F1E418F
	v_mul_f32_dpp v240, v252, v128 quad_perm:[0,0,0,0] row_mask:0xf bank_mask:0xf// 0000000099CC: 0BE100FA FF0000FC
	v_mul_f32_dpp v241, v252, v129 quad_perm:[1,1,1,1] row_mask:0xf bank_mask:0xf// 0000000099D4: 0BE302FA FF0055FC
	v_mul_f32_dpp v242, v252, v130 quad_perm:[2,2,2,2] row_mask:0xf bank_mask:0xf// 0000000099DC: 0BE504FA FF00AAFC
	v_mul_f32_dpp v243, v252, v131 quad_perm:[3,3,3,3] row_mask:0xf bank_mask:0xf// 0000000099E4: 0BE706FA FF00FFFC
	v_mul_f32_dpp v244, v253, v132 quad_perm:[0,0,0,0] row_mask:0xf bank_mask:0xf// 0000000099EC: 0BE908FA FF0000FD
	v_mul_f32_dpp v245, v253, v133 quad_perm:[1,1,1,1] row_mask:0xf bank_mask:0xf// 0000000099F4: 0BEB0AFA FF0055FD
	v_mul_f32_dpp v246, v253, v134 quad_perm:[2,2,2,2] row_mask:0xf bank_mask:0xf// 0000000099FC: 0BED0CFA FF00AAFD
	v_mul_f32_dpp v247, v253, v135 quad_perm:[3,3,3,3] row_mask:0xf bank_mask:0xf// 000000009A04: 0BEF0EFA FF00FFFD
	v_mul_f32_dpp v248, v254, v136 quad_perm:[0,0,0,0] row_mask:0xf bank_mask:0xf// 000000009A0C: 0BF110FA FF0000FE
	v_mul_f32_dpp v249, v254, v137 quad_perm:[1,1,1,1] row_mask:0xf bank_mask:0xf// 000000009A14: 0BF312FA FF0055FE
	v_mul_f32_dpp v250, v254, v138 quad_perm:[2,2,2,2] row_mask:0xf bank_mask:0xf// 000000009A1C: 0BF514FA FF00AAFE
	v_mul_f32_dpp v251, v254, v139 quad_perm:[3,3,3,3] row_mask:0xf bank_mask:0xf// 000000009A24: 0BF716FA FF00FFFE
	v_mul_f32_dpp v252, v255, v140 quad_perm:[0,0,0,0] row_mask:0xf bank_mask:0xf// 000000009A2C: 0BF918FA FF0000FF
	v_mul_f32_dpp v253, v255, v141 quad_perm:[1,1,1,1] row_mask:0xf bank_mask:0xf// 000000009A34: 0BFB1AFA FF0055FF
	v_mul_f32_dpp v254, v255, v142 quad_perm:[2,2,2,2] row_mask:0xf bank_mask:0xf// 000000009A3C: 0BFD1CFA FF00AAFF
	v_mul_f32_dpp v255, v255, v143 quad_perm:[3,3,3,3] row_mask:0xf bank_mask:0xf// 000000009A44: 0BFF1EFA FF00FFFF
	v_mov_b32_e32 v62, 0x358637bd                              // 000000009A4C: 7E7C02FF 358637BD
	v_max3_f32 v62, |v240|, |v241|, v62                        // 000000009A54: D1D3033E 04FBE3F0
	v_max3_f32 v62, |v242|, |v243|, v62                        // 000000009A5C: D1D3033E 04FBE7F2
	v_max3_f32 v62, |v244|, |v245|, v62                        // 000000009A64: D1D3033E 04FBEBF4
	v_max3_f32 v62, |v246|, |v247|, v62                        // 000000009A6C: D1D3033E 04FBEFF6
	v_max3_f32 v62, |v248|, |v249|, v62                        // 000000009A74: D1D3033E 04FBF3F8
	v_max3_f32 v62, |v250|, |v251|, v62                        // 000000009A7C: D1D3033E 04FBF7FA
	v_max3_f32 v62, |v252|, |v253|, v62                        // 000000009A84: D1D3033E 04FBFBFC
	v_max3_f32 v62, |v254|, |v255|, v62                        // 000000009A8C: D1D3033E 04FBFFFE
	ds_write_b32 v11, v62 offset:20992                         // 000000009A94: D81A5200 00003E0B
	v_sub_f32_e32 v63, v14, v18                                // 000000009A9C: 047E250E
	v_cndmask_b32_e64 v63, v63, 0, s[40:41]                    // 000000009AA0: D100003F 00A1013F
	v_mov_b32_e32 v14, v18                                     // 000000009AA8: 7E1C0312
	v_mul_f32_e32 v63, s64, v63                                // 000000009AAC: 0A7E7E40
	v_exp_f32_e32 v63, v63                                     // 000000009AB0: 7E7E413F
	s_waitcnt lgkmcnt(0)                                       // 000000009AB4: BF8CC07F
	s_barrier                                                  // 000000009AB8: BF8A0000
	ds_read_b32 v80, v10 offset:20992                          // 000000009ABC: D86C5200 5000000A
	ds_read_b32 v81, v10 offset:21056                          // 000000009AC4: D86C5240 5100000A
	ds_read_b32 v82, v10 offset:21120                          // 000000009ACC: D86C5280 5200000A
	ds_read_b32 v83, v10 offset:21184                          // 000000009AD4: D86C52C0 5300000A
	ds_read_b32 v84, v10 offset:21248                          // 000000009ADC: D86C5300 5400000A
	ds_read_b32 v85, v10 offset:21312                          // 000000009AE4: D86C5340 5500000A
	ds_read_b32 v86, v10 offset:21376                          // 000000009AEC: D86C5380 5600000A
	ds_read_b32 v87, v10 offset:21440                          // 000000009AF4: D86C53C0 5700000A
	ds_read_b32 v88, v10 offset:21504                          // 000000009AFC: D86C5400 5800000A
	ds_read_b32 v89, v10 offset:21568                          // 000000009B04: D86C5440 5900000A
	ds_read_b32 v90, v10 offset:21632                          // 000000009B0C: D86C5480 5A00000A
	ds_read_b32 v91, v10 offset:21696                          // 000000009B14: D86C54C0 5B00000A
	ds_read_b32 v92, v10 offset:21760                          // 000000009B1C: D86C5500 5C00000A
	ds_read_b32 v93, v10 offset:21824                          // 000000009B24: D86C5540 5D00000A
	ds_read_b32 v94, v10 offset:21888                          // 000000009B2C: D86C5580 5E00000A
	ds_read_b32 v95, v10 offset:21952                          // 000000009B34: D86C55C0 5F00000A
	v_mul_f32_e32 v47, v63, v47                                // 000000009B3C: 0A5E5F3F
	v_mov_b32_e32 v18, v128                                    // 000000009B40: 7E240380
	v_add_f32_e32 v18, v129, v18                               // 000000009B44: 02242581
	v_add_f32_e32 v18, v130, v18                               // 000000009B48: 02242582
	v_add_f32_e32 v18, v131, v18                               // 000000009B4C: 02242583
	v_add_f32_e32 v18, v132, v18                               // 000000009B50: 02242584
	v_add_f32_e32 v18, v133, v18                               // 000000009B54: 02242585
	v_add_f32_e32 v18, v134, v18                               // 000000009B58: 02242586
	v_add_f32_e32 v18, v135, v18                               // 000000009B5C: 02242587
	v_add_f32_e32 v18, v136, v18                               // 000000009B60: 02242588
	v_add_f32_e32 v18, v137, v18                               // 000000009B64: 02242589
	v_add_f32_e32 v18, v138, v18                               // 000000009B68: 0224258A
	v_add_f32_e32 v18, v139, v18                               // 000000009B6C: 0224258B
	v_add_f32_e32 v18, v140, v18                               // 000000009B70: 0224258C
	v_add_f32_e32 v18, v141, v18                               // 000000009B74: 0224258D
	v_add_f32_e32 v18, v142, v18                               // 000000009B78: 0224258E
	v_add_f32_e32 v18, v143, v18                               // 000000009B7C: 0224258F
	v_add_f32_e32 v47, v18, v47                                // 000000009B80: 025E5F12
	s_waitcnt lgkmcnt(0)                                       // 000000009B84: BF8CC07F
	v_max3_f32 v62, |v80|, |v81|, v62                          // 000000009B88: D1D3033E 04FAA350
	v_max3_f32 v62, |v82|, |v83|, v62                          // 000000009B90: D1D3033E 04FAA752
	v_max3_f32 v62, |v84|, |v85|, v62                          // 000000009B98: D1D3033E 04FAAB54
	v_max3_f32 v62, |v86|, |v87|, v62                          // 000000009BA0: D1D3033E 04FAAF56
	v_max3_f32 v62, |v88|, |v89|, v62                          // 000000009BA8: D1D3033E 04FAB358
	v_max3_f32 v62, |v90|, |v91|, v62                          // 000000009BB0: D1D3033E 04FAB75A
	v_max3_f32 v62, |v92|, |v93|, v62                          // 000000009BB8: D1D3033E 04FABB5C
	v_max3_f32 v62, |v94|, |v95|, v62                          // 000000009BC0: D1D3033E 04FABF5E
	s_nop 2                                                    // 000000009BC8: BF800002
	v_rcp_f32_e32 v62, v62                                     // 000000009BCC: 7E7C453E
	s_nop 1                                                    // 000000009BD0: BF800001
	v_mul_f32_e32 v62, 0x42fe0000, v62                         // 000000009BD4: 0A7C7CFF 42FE0000
	v_mul_f32_e32 v128, v62, v240                              // 000000009BDC: 0B01E13E
	v_mul_f32_e32 v129, v62, v241                              // 000000009BE0: 0B03E33E
	v_mul_f32_e32 v130, v62, v242                              // 000000009BE4: 0B05E53E
	v_mul_f32_e32 v131, v62, v243                              // 000000009BE8: 0B07E73E
	v_mul_f32_e32 v132, v62, v244                              // 000000009BEC: 0B09E93E
	v_mul_f32_e32 v133, v62, v245                              // 000000009BF0: 0B0BEB3E
	v_mul_f32_e32 v134, v62, v246                              // 000000009BF4: 0B0DED3E
	v_mul_f32_e32 v135, v62, v247                              // 000000009BF8: 0B0FEF3E
	v_mul_f32_e32 v136, v62, v248                              // 000000009BFC: 0B11F13E
	v_mul_f32_e32 v137, v62, v249                              // 000000009C00: 0B13F33E
	v_mul_f32_e32 v138, v62, v250                              // 000000009C04: 0B15F53E
	v_mul_f32_e32 v139, v62, v251                              // 000000009C08: 0B17F73E
	v_mul_f32_e32 v140, v62, v252                              // 000000009C0C: 0B19F93E
	v_mul_f32_e32 v141, v62, v253                              // 000000009C10: 0B1BFB3E
	v_mul_f32_e32 v142, v62, v254                              // 000000009C14: 0B1DFD3E
	v_mul_f32_e32 v143, v62, v255                              // 000000009C18: 0B1FFF3E
	v_cvt_i32_f32_e32 v128, v128                               // 000000009C1C: 7F001180
	v_cvt_i32_f32_e32 v129, v129                               // 000000009C20: 7F021181
	v_cvt_i32_f32_e32 v130, v130                               // 000000009C24: 7F041182
	v_cvt_i32_f32_e32 v131, v131                               // 000000009C28: 7F061183
	v_cvt_i32_f32_e32 v132, v132                               // 000000009C2C: 7F081184
	v_cvt_i32_f32_e32 v133, v133                               // 000000009C30: 7F0A1185
	v_cvt_i32_f32_e32 v134, v134                               // 000000009C34: 7F0C1186
	v_cvt_i32_f32_e32 v135, v135                               // 000000009C38: 7F0E1187
	v_cvt_i32_f32_e32 v136, v136                               // 000000009C3C: 7F101188
	v_cvt_i32_f32_e32 v137, v137                               // 000000009C40: 7F121189
	v_cvt_i32_f32_e32 v138, v138                               // 000000009C44: 7F14118A
	v_cvt_i32_f32_e32 v139, v139                               // 000000009C48: 7F16118B
	v_cvt_i32_f32_e32 v140, v140                               // 000000009C4C: 7F18118C
	v_cvt_i32_f32_e32 v141, v141                               // 000000009C50: 7F1A118D
	v_cvt_i32_f32_e32 v142, v142                               // 000000009C54: 7F1C118E
	v_cvt_i32_f32_e32 v143, v143                               // 000000009C58: 7F1E118F
	v_perm_b32 v128, v129, v128, s53                           // 000000009C5C: D1ED0080 00D70181
	v_perm_b32 v128, v130, v128, s54                           // 000000009C64: D1ED0080 00DB0182
	v_perm_b32 v128, v131, v128, s55                           // 000000009C6C: D1ED0080 00DF0183
	v_perm_b32 v129, v133, v132, s53                           // 000000009C74: D1ED0081 00D70985
	v_perm_b32 v129, v134, v129, s54                           // 000000009C7C: D1ED0081 00DB0386
	v_perm_b32 v129, v135, v129, s55                           // 000000009C84: D1ED0081 00DF0387
	v_perm_b32 v130, v137, v136, s53                           // 000000009C8C: D1ED0082 00D71189
	v_perm_b32 v130, v138, v130, s54                           // 000000009C94: D1ED0082 00DB058A
	v_perm_b32 v130, v139, v130, s55                           // 000000009C9C: D1ED0082 00DF058B
	v_perm_b32 v131, v141, v140, s53                           // 000000009CA4: D1ED0083 00D7198D
	v_perm_b32 v131, v142, v131, s54                           // 000000009CAC: D1ED0083 00DB078E
	v_perm_b32 v131, v143, v131, s55                           // 000000009CB4: D1ED0083 00DF078F
	ds_write_b32 v13, v128 offset:25088                        // 000000009CBC: D81A6200 0000800D
	ds_write_b32 v13, v129 offset:26112                        // 000000009CC4: D81A6600 0000810D
	ds_write_b32 v13, v130 offset:27136                        // 000000009CCC: D81A6A00 0000820D
	ds_write_b32 v13, v131 offset:28160                        // 000000009CD4: D81A6E00 0000830D
	v_add_f32_e32 v224, v224, v192                             // 000000009CDC: 03C181E0
	v_add_f32_e32 v225, v225, v193                             // 000000009CE0: 03C383E1
	v_add_f32_e32 v226, v226, v194                             // 000000009CE4: 03C585E2
	v_add_f32_e32 v227, v227, v195                             // 000000009CE8: 03C787E3
	v_add_f32_e32 v228, v228, v196                             // 000000009CEC: 03C989E4
	v_add_f32_e32 v229, v229, v197                             // 000000009CF0: 03CB8BE5
	v_add_f32_e32 v230, v230, v198                             // 000000009CF4: 03CD8DE6
	v_add_f32_e32 v231, v231, v199                             // 000000009CF8: 03CF8FE7
	v_rcp_f32_e32 v58, v62                                     // 000000009CFC: 7E74453E
	s_waitcnt lgkmcnt(0)                                       // 000000009D00: BF8CC07F
	s_barrier                                                  // 000000009D04: BF8A0000
	ds_read_b64 v[128:129], v12 offset:25088                   // 000000009D08: D8EC6200 8000000C
	ds_read_b64 v[130:131], v12 offset:25216                   // 000000009D10: D8EC6280 8200000C
	ds_read_b64 v[132:133], v12 offset:26112                   // 000000009D18: D8EC6600 8400000C
	ds_read_b64 v[134:135], v12 offset:26240                   // 000000009D20: D8EC6680 8600000C
	ds_read_b64 v[136:137], v12 offset:27136                   // 000000009D28: D8EC6A00 8800000C
	ds_read_b64 v[138:139], v12 offset:27264                   // 000000009D30: D8EC6A80 8A00000C
	ds_read_b64 v[140:141], v12 offset:28160                   // 000000009D38: D8EC6E00 8C00000C
	ds_read_b64 v[142:143], v12 offset:28288                   // 000000009D40: D8EC6E80 8E00000C
	s_waitcnt vmcnt(0)                                         // 000000009D48: BF8C0F70
	s_barrier                                                  // 000000009D4C: BF8A0000
	s_waitcnt lgkmcnt(7)                                       // 000000009D50: BF8CC77F
	v_mfma_i32_16x16x32_i8 v[192:195], a[64:65], v[128:129], 0 // 000000009D54: D3D700C0 0A030140
	s_waitcnt lgkmcnt(6)                                       // 000000009D5C: BF8CC67F
	v_mfma_i32_16x16x32_i8 v[192:195], a[66:67], v[130:131], v[192:195]// 000000009D60: D3D700C0 0F030542
	s_waitcnt lgkmcnt(5)                                       // 000000009D68: BF8CC57F
	v_mfma_i32_16x16x32_i8 v[192:195], a[68:69], v[132:133], v[192:195]// 000000009D6C: D3D700C0 0F030944
	s_waitcnt lgkmcnt(4)                                       // 000000009D74: BF8CC47F
	v_mfma_i32_16x16x32_i8 v[192:195], a[70:71], v[134:135], v[192:195]// 000000009D78: D3D700C0 0F030D46
	s_waitcnt lgkmcnt(3)                                       // 000000009D80: BF8CC37F
	v_mfma_i32_16x16x32_i8 v[192:195], a[72:73], v[136:137], v[192:195]// 000000009D84: D3D700C0 0F031148
	s_waitcnt lgkmcnt(2)                                       // 000000009D8C: BF8CC27F
	v_mfma_i32_16x16x32_i8 v[192:195], a[74:75], v[138:139], v[192:195]// 000000009D90: D3D700C0 0F03154A
	s_waitcnt lgkmcnt(1)                                       // 000000009D98: BF8CC17F
	v_mfma_i32_16x16x32_i8 v[192:195], a[76:77], v[140:141], v[192:195]// 000000009D9C: D3D700C0 0F03194C
	s_waitcnt lgkmcnt(0)                                       // 000000009DA4: BF8CC07F
	v_mfma_i32_16x16x32_i8 v[192:195], a[78:79], v[142:143], v[192:195]// 000000009DA8: D3D700C0 0F031D4E
	v_mfma_i32_16x16x32_i8 v[196:199], a[80:81], v[128:129], 0 // 000000009DB0: D3D700C4 0A030150
	v_mfma_i32_16x16x32_i8 v[196:199], a[82:83], v[130:131], v[196:199]// 000000009DB8: D3D700C4 0F130552
	v_mfma_i32_16x16x32_i8 v[196:199], a[84:85], v[132:133], v[196:199]// 000000009DC0: D3D700C4 0F130954
	v_mfma_i32_16x16x32_i8 v[196:199], a[86:87], v[134:135], v[196:199]// 000000009DC8: D3D700C4 0F130D56
	v_mfma_i32_16x16x32_i8 v[196:199], a[88:89], v[136:137], v[196:199]// 000000009DD0: D3D700C4 0F131158
	v_mfma_i32_16x16x32_i8 v[196:199], a[90:91], v[138:139], v[196:199]// 000000009DD8: D3D700C4 0F13155A
	v_mfma_i32_16x16x32_i8 v[196:199], a[92:93], v[140:141], v[196:199]// 000000009DE0: D3D700C4 0F13195C
	v_mfma_i32_16x16x32_i8 v[196:199], a[94:95], v[142:143], v[196:199]// 000000009DE8: D3D700C4 0F131D5E
	s_nop 4                                                    // 000000009DF0: BF800004
	s_branch label_2222                                        // 000000009DF4: BF820324

0000000000009df8 <label_1EFE>:
	s_waitcnt vmcnt(8) lgkmcnt(0)                              // 000000009DF8: BF8C0078
	s_barrier                                                  // 000000009DFC: BF8A0000
	v_mfma_i32_16x16x32_i8 v[128:131], a[32:33], v[96:97], 0   // 000000009E00: D3D70080 0A02C120
	v_mfma_i32_16x16x32_i8 v[128:131], a[34:35], v[98:99], v[128:131]// 000000009E08: D3D70080 0E02C522
	v_mfma_i32_16x16x32_i8 v[128:131], a[36:37], v[100:101], v[128:131]// 000000009E10: D3D70080 0E02C924
	v_mfma_i32_16x16x32_i8 v[128:131], a[38:39], v[102:103], v[128:131]// 000000009E18: D3D70080 0E02CD26
	v_mfma_i32_16x16x32_i8 v[132:135], a[40:41], v[96:97], 0   // 000000009E20: D3D70084 0A02C128
	v_mfma_i32_16x16x32_i8 v[132:135], a[42:43], v[98:99], v[132:135]// 000000009E28: D3D70084 0E12C52A
	v_mfma_i32_16x16x32_i8 v[132:135], a[44:45], v[100:101], v[132:135]// 000000009E30: D3D70084 0E12C92C
	v_mfma_i32_16x16x32_i8 v[132:135], a[46:47], v[102:103], v[132:135]// 000000009E38: D3D70084 0E12CD2E
	v_mfma_i32_16x16x32_i8 v[136:139], a[48:49], v[96:97], 0   // 000000009E40: D3D70088 0A02C130
	v_mfma_i32_16x16x32_i8 v[136:139], a[50:51], v[98:99], v[136:139]// 000000009E48: D3D70088 0E22C532
	v_mfma_i32_16x16x32_i8 v[136:139], a[52:53], v[100:101], v[136:139]// 000000009E50: D3D70088 0E22C934
	v_mfma_i32_16x16x32_i8 v[136:139], a[54:55], v[102:103], v[136:139]// 000000009E58: D3D70088 0E22CD36
	v_mfma_i32_16x16x32_i8 v[140:143], a[56:57], v[96:97], 0   // 000000009E60: D3D7008C 0A02C138
	v_mfma_i32_16x16x32_i8 v[140:143], a[58:59], v[98:99], v[140:143]// 000000009E68: D3D7008C 0E32C53A
	v_mfma_i32_16x16x32_i8 v[140:143], a[60:61], v[100:101], v[140:143]// 000000009E70: D3D7008C 0E32C93C
	v_mfma_i32_16x16x32_i8 v[140:143], a[62:63], v[102:103], v[140:143]// 000000009E78: D3D7008C 0E32CD3E
	v_mov_b32_dpp v41, v53 row_shr:4 row_mask:0xf bank_mask:0xf// 000000009E80: 7E5202FA FF011435
	v_mov_b32_dpp v42, v53 row_shl:4 row_mask:0xf bank_mask:0xf// 000000009E88: 7E5402FA FF010435
	v_cndmask_b32_e64 v248, v53, v41, s[44:45]                 // 000000009E90: D10000F8 00B25335
	v_cndmask_b32_e64 v249, v42, v53, s[44:45]                 // 000000009E98: D10000F9 00B26B2A
	v_mov_b32_dpp v41, v248 row_shr:8 row_mask:0xf bank_mask:0xf// 000000009EA0: 7E5202FA FF0118F8
	v_mov_b32_dpp v42, v248 row_shl:8 row_mask:0xf bank_mask:0xf// 000000009EA8: 7E5402FA FF0108F8
	v_mov_b32_dpp v43, v249 row_shr:8 row_mask:0xf bank_mask:0xf// 000000009EB0: 7E5602FA FF0118F9
	v_mov_b32_dpp v44, v249 row_shl:8 row_mask:0xf bank_mask:0xf// 000000009EB8: 7E5802FA FF0108F9
	v_mov_b32_e32 v45, v248                                    // 000000009EC0: 7E5A03F8
	v_mov_b32_e32 v46, v249                                    // 000000009EC4: 7E5C03F9
	v_cndmask_b32_e64 v248, v45, v41, s[42:43]                 // 000000009EC8: D10000F8 00AA532D
	v_cndmask_b32_e64 v250, v45, v42, s[78:79]                 // 000000009ED0: D10000FA 013A552D
	v_cndmask_b32_e64 v249, v46, v43, s[42:43]                 // 000000009ED8: D10000F9 00AA572E
	v_cndmask_b32_e64 v251, v46, v44, s[78:79]                 // 000000009EE0: D10000FB 013A592E
	v_mov_b32_dpp v41, v73 row_shr:4 row_mask:0xf bank_mask:0xf// 000000009EE8: 7E5202FA FF011449
	v_mov_b32_dpp v42, v73 row_shl:4 row_mask:0xf bank_mask:0xf// 000000009EF0: 7E5402FA FF010449
	v_cndmask_b32_e64 v252, v73, v41, s[44:45]                 // 000000009EF8: D10000FC 00B25349
	v_cndmask_b32_e64 v253, v42, v73, s[44:45]                 // 000000009F00: D10000FD 00B2932A
	v_mov_b32_dpp v41, v252 row_shr:8 row_mask:0xf bank_mask:0xf// 000000009F08: 7E5202FA FF0118FC
	v_mov_b32_dpp v42, v252 row_shl:8 row_mask:0xf bank_mask:0xf// 000000009F10: 7E5402FA FF0108FC
	v_mov_b32_dpp v43, v253 row_shr:8 row_mask:0xf bank_mask:0xf// 000000009F18: 7E5602FA FF0118FD
	v_mov_b32_dpp v44, v253 row_shl:8 row_mask:0xf bank_mask:0xf// 000000009F20: 7E5802FA FF0108FD
	v_mov_b32_e32 v45, v252                                    // 000000009F28: 7E5A03FC
	v_mov_b32_e32 v46, v253                                    // 000000009F2C: 7E5C03FD
	v_cndmask_b32_e64 v252, v45, v41, s[42:43]                 // 000000009F30: D10000FC 00AA532D
	v_cndmask_b32_e64 v254, v45, v42, s[78:79]                 // 000000009F38: D10000FE 013A552D
	v_cndmask_b32_e64 v253, v46, v43, s[42:43]                 // 000000009F40: D10000FD 00AA572E
	v_cndmask_b32_e64 v255, v46, v44, s[78:79]                 // 000000009F48: D10000FF 013A592E
	v_cvt_f32_i32_e32 v128, v128                               // 000000009F50: 7F000B80
	v_cvt_f32_i32_e32 v129, v129                               // 000000009F54: 7F020B81
	v_cvt_f32_i32_e32 v130, v130                               // 000000009F58: 7F040B82
	v_cvt_f32_i32_e32 v131, v131                               // 000000009F5C: 7F060B83
	v_cvt_f32_i32_e32 v132, v132                               // 000000009F60: 7F080B84
	v_cvt_f32_i32_e32 v133, v133                               // 000000009F64: 7F0A0B85
	v_cvt_f32_i32_e32 v134, v134                               // 000000009F68: 7F0C0B86
	v_cvt_f32_i32_e32 v135, v135                               // 000000009F6C: 7F0E0B87
	v_cvt_f32_i32_e32 v136, v136                               // 000000009F70: 7F100B88
	v_cvt_f32_i32_e32 v137, v137                               // 000000009F74: 7F120B89
	v_cvt_f32_i32_e32 v138, v138                               // 000000009F78: 7F140B8A
	v_cvt_f32_i32_e32 v139, v139                               // 000000009F7C: 7F160B8B
	v_cvt_f32_i32_e32 v140, v140                               // 000000009F80: 7F180B8C
	v_cvt_f32_i32_e32 v141, v141                               // 000000009F84: 7F1A0B8D
	v_cvt_f32_i32_e32 v142, v142                               // 000000009F88: 7F1C0B8E
	v_cvt_f32_i32_e32 v143, v143                               // 000000009F8C: 7F1E0B8F
	v_mul_f32_e32 v128, v54, v128                              // 000000009F90: 0B010136
	v_mul_f32_e32 v129, v54, v129                              // 000000009F94: 0B030336
	v_mul_f32_e32 v130, v54, v130                              // 000000009F98: 0B050536
	v_mul_f32_e32 v131, v54, v131                              // 000000009F9C: 0B070736
	v_mul_f32_e32 v132, v54, v132                              // 000000009FA0: 0B090936
	v_mul_f32_e32 v133, v54, v133                              // 000000009FA4: 0B0B0B36
	v_mul_f32_e32 v134, v54, v134                              // 000000009FA8: 0B0D0D36
	v_mul_f32_e32 v135, v54, v135                              // 000000009FAC: 0B0F0F36
	v_mul_f32_e32 v136, v54, v136                              // 000000009FB0: 0B111136
	v_mul_f32_e32 v137, v54, v137                              // 000000009FB4: 0B131336
	v_mul_f32_e32 v138, v54, v138                              // 000000009FB8: 0B151536
	v_mul_f32_e32 v139, v54, v139                              // 000000009FBC: 0B171736
	v_mul_f32_e32 v140, v54, v140                              // 000000009FC0: 0B191936
	v_mul_f32_e32 v141, v54, v141                              // 000000009FC4: 0B1B1B36
	v_mul_f32_e32 v142, v54, v142                              // 000000009FC8: 0B1D1D36
	v_mul_f32_e32 v143, v54, v143                              // 000000009FCC: 0B1F1F36
	v_mul_f32_dpp v128, v248, v128 quad_perm:[0,0,0,0] row_mask:0xf bank_mask:0xf// 000000009FD0: 0B0100FA FF0000F8
	v_mul_f32_dpp v129, v248, v129 quad_perm:[1,1,1,1] row_mask:0xf bank_mask:0xf// 000000009FD8: 0B0302FA FF0055F8
	v_mul_f32_dpp v130, v248, v130 quad_perm:[2,2,2,2] row_mask:0xf bank_mask:0xf// 000000009FE0: 0B0504FA FF00AAF8
	v_mul_f32_dpp v131, v248, v131 quad_perm:[3,3,3,3] row_mask:0xf bank_mask:0xf// 000000009FE8: 0B0706FA FF00FFF8
	v_mul_f32_dpp v132, v249, v132 quad_perm:[0,0,0,0] row_mask:0xf bank_mask:0xf// 000000009FF0: 0B0908FA FF0000F9
	v_mul_f32_dpp v133, v249, v133 quad_perm:[1,1,1,1] row_mask:0xf bank_mask:0xf// 000000009FF8: 0B0B0AFA FF0055F9
	v_mul_f32_dpp v134, v249, v134 quad_perm:[2,2,2,2] row_mask:0xf bank_mask:0xf// 00000000A000: 0B0D0CFA FF00AAF9
	v_mul_f32_dpp v135, v249, v135 quad_perm:[3,3,3,3] row_mask:0xf bank_mask:0xf// 00000000A008: 0B0F0EFA FF00FFF9
	v_mul_f32_dpp v136, v250, v136 quad_perm:[0,0,0,0] row_mask:0xf bank_mask:0xf// 00000000A010: 0B1110FA FF0000FA
	v_mul_f32_dpp v137, v250, v137 quad_perm:[1,1,1,1] row_mask:0xf bank_mask:0xf// 00000000A018: 0B1312FA FF0055FA
	v_mul_f32_dpp v138, v250, v138 quad_perm:[2,2,2,2] row_mask:0xf bank_mask:0xf// 00000000A020: 0B1514FA FF00AAFA
	v_mul_f32_dpp v139, v250, v139 quad_perm:[3,3,3,3] row_mask:0xf bank_mask:0xf// 00000000A028: 0B1716FA FF00FFFA
	v_mul_f32_dpp v140, v251, v140 quad_perm:[0,0,0,0] row_mask:0xf bank_mask:0xf// 00000000A030: 0B1918FA FF0000FB
	v_mul_f32_dpp v141, v251, v141 quad_perm:[1,1,1,1] row_mask:0xf bank_mask:0xf// 00000000A038: 0B1B1AFA FF0055FB
	v_mul_f32_dpp v142, v251, v142 quad_perm:[2,2,2,2] row_mask:0xf bank_mask:0xf// 00000000A040: 0B1D1CFA FF00AAFB
	v_mul_f32_dpp v143, v251, v143 quad_perm:[3,3,3,3] row_mask:0xf bank_mask:0xf// 00000000A048: 0B1F1EFA FF00FFFB
	s_cmp_le_i32 s90, s89                                      // 00000000A050: BF05595A
	s_cbranch_scc1 label_2009                                  // 00000000A054: BF850073
	v_mov_b32_e32 v69, 0xff800000                              // 00000000A058: 7E8A02FF FF800000
	s_mov_b32 s60, s90                                         // 00000000A060: BEBC005A
	s_add_u32 s61, s89, 0xff                                   // 00000000A064: 803DFF59 000000FF
	v_mov_b32_e32 v41, s61                                     // 00000000A06C: 7E52023D
	v_lshrrev_b32_e32 v240, 4, v0                              // 00000000A070: 21E00084
	v_mul_i32_i24_e32 v240, 4, v240                            // 00000000A074: 0DE1E084
	v_add_u32_e32 v240, s60, v240                              // 00000000A078: 69E1E03C
	v_and_b32_e32 v42, 15, v0                                  // 00000000A07C: 2654008F
	v_lshrrev_b32_e32 v42, 3, v42                              // 00000000A080: 20545483
	s_mov_b32 s61, 0                                           // 00000000A084: BEBD0080
	s_mul_i32 s60, 16, s7                                      // 00000000A088: 923C0790
	v_add_u32_e32 v42, s61, v42                                // 00000000A08C: 6854543D
	v_sub_u32_e32 v240, v240, v42                              // 00000000A090: 6BE055F0
	v_add_u32_e32 v240, s60, v240                              // 00000000A094: 69E1E03C
	v_add_u32_e32 v241, 1, v240                                // 00000000A098: 69E3E081
	v_add_u32_e32 v242, 2, v240                                // 00000000A09C: 69E5E082
	v_add_u32_e32 v243, 3, v240                                // 00000000A0A0: 69E7E083
	v_cmp_le_u32_e64 s[40:41], v240, v41                       // 00000000A0A4: D0CB0028 000253F0
	v_add_u32_e32 v240, 64, v240                               // 00000000A0AC: 69E1E0C0
	s_nop 0                                                    // 00000000A0B0: BF800000
	v_cndmask_b32_e64 v128, v69, v128, s[40:41]                // 00000000A0B4: D1000080 00A30145
	v_cmp_le_u32_e64 s[40:41], v241, v41                       // 00000000A0BC: D0CB0028 000253F1
	v_add_u32_e32 v241, 64, v241                               // 00000000A0C4: 69E3E2C0
	s_nop 0                                                    // 00000000A0C8: BF800000
	v_cndmask_b32_e64 v129, v69, v129, s[40:41]                // 00000000A0CC: D1000081 00A30345
	v_cmp_le_u32_e64 s[40:41], v242, v41                       // 00000000A0D4: D0CB0028 000253F2
	v_add_u32_e32 v242, 64, v242                               // 00000000A0DC: 69E5E4C0
	s_nop 0                                                    // 00000000A0E0: BF800000
	v_cndmask_b32_e64 v130, v69, v130, s[40:41]                // 00000000A0E4: D1000082 00A30545
	v_cmp_le_u32_e64 s[40:41], v243, v41                       // 00000000A0EC: D0CB0028 000253F3
	v_add_u32_e32 v243, 64, v243                               // 00000000A0F4: 69E7E6C0
	s_nop 0                                                    // 00000000A0F8: BF800000
	v_cndmask_b32_e64 v131, v69, v131, s[40:41]                // 00000000A0FC: D1000083 00A30745
	v_cmp_le_u32_e64 s[40:41], v240, v41                       // 00000000A104: D0CB0028 000253F0
	v_add_u32_e32 v240, 64, v240                               // 00000000A10C: 69E1E0C0
	s_nop 0                                                    // 00000000A110: BF800000
	v_cndmask_b32_e64 v132, v69, v132, s[40:41]                // 00000000A114: D1000084 00A30945
	v_cmp_le_u32_e64 s[40:41], v241, v41                       // 00000000A11C: D0CB0028 000253F1
	v_add_u32_e32 v241, 64, v241                               // 00000000A124: 69E3E2C0
	s_nop 0                                                    // 00000000A128: BF800000
	v_cndmask_b32_e64 v133, v69, v133, s[40:41]                // 00000000A12C: D1000085 00A30B45
	v_cmp_le_u32_e64 s[40:41], v242, v41                       // 00000000A134: D0CB0028 000253F2
	v_add_u32_e32 v242, 64, v242                               // 00000000A13C: 69E5E4C0
	s_nop 0                                                    // 00000000A140: BF800000
	v_cndmask_b32_e64 v134, v69, v134, s[40:41]                // 00000000A144: D1000086 00A30D45
	v_cmp_le_u32_e64 s[40:41], v243, v41                       // 00000000A14C: D0CB0028 000253F3
	v_add_u32_e32 v243, 64, v243                               // 00000000A154: 69E7E6C0
	s_nop 0                                                    // 00000000A158: BF800000
	v_cndmask_b32_e64 v135, v69, v135, s[40:41]                // 00000000A15C: D1000087 00A30F45
	v_cmp_le_u32_e64 s[40:41], v240, v41                       // 00000000A164: D0CB0028 000253F0
	v_add_u32_e32 v240, 64, v240                               // 00000000A16C: 69E1E0C0
	s_nop 0                                                    // 00000000A170: BF800000
	v_cndmask_b32_e64 v136, v69, v136, s[40:41]                // 00000000A174: D1000088 00A31145
	v_cmp_le_u32_e64 s[40:41], v241, v41                       // 00000000A17C: D0CB0028 000253F1
	v_add_u32_e32 v241, 64, v241                               // 00000000A184: 69E3E2C0
	s_nop 0                                                    // 00000000A188: BF800000
	v_cndmask_b32_e64 v137, v69, v137, s[40:41]                // 00000000A18C: D1000089 00A31345
	v_cmp_le_u32_e64 s[40:41], v242, v41                       // 00000000A194: D0CB0028 000253F2
	v_add_u32_e32 v242, 64, v242                               // 00000000A19C: 69E5E4C0
	s_nop 0                                                    // 00000000A1A0: BF800000
	v_cndmask_b32_e64 v138, v69, v138, s[40:41]                // 00000000A1A4: D100008A 00A31545
	v_cmp_le_u32_e64 s[40:41], v243, v41                       // 00000000A1AC: D0CB0028 000253F3
	v_add_u32_e32 v243, 64, v243                               // 00000000A1B4: 69E7E6C0
	s_nop 0                                                    // 00000000A1B8: BF800000
	v_cndmask_b32_e64 v139, v69, v139, s[40:41]                // 00000000A1BC: D100008B 00A31745
	v_cmp_le_u32_e64 s[40:41], v240, v41                       // 00000000A1C4: D0CB0028 000253F0
	v_add_u32_e32 v240, 64, v240                               // 00000000A1CC: 69E1E0C0
	s_nop 0                                                    // 00000000A1D0: BF800000
	v_cndmask_b32_e64 v140, v69, v140, s[40:41]                // 00000000A1D4: D100008C 00A31945
	v_cmp_le_u32_e64 s[40:41], v241, v41                       // 00000000A1DC: D0CB0028 000253F1
	v_add_u32_e32 v241, 64, v241                               // 00000000A1E4: 69E3E2C0
	s_nop 0                                                    // 00000000A1E8: BF800000
	v_cndmask_b32_e64 v141, v69, v141, s[40:41]                // 00000000A1EC: D100008D 00A31B45
	v_cmp_le_u32_e64 s[40:41], v242, v41                       // 00000000A1F4: D0CB0028 000253F2
	v_add_u32_e32 v242, 64, v242                               // 00000000A1FC: 69E5E4C0
	s_nop 0                                                    // 00000000A200: BF800000
	v_cndmask_b32_e64 v142, v69, v142, s[40:41]                // 00000000A204: D100008E 00A31D45
	v_cmp_le_u32_e64 s[40:41], v243, v41                       // 00000000A20C: D0CB0028 000253F3
	v_add_u32_e32 v243, 64, v243                               // 00000000A214: 69E7E6C0
	s_nop 0                                                    // 00000000A218: BF800000
	v_cndmask_b32_e64 v143, v69, v143, s[40:41]                // 00000000A21C: D100008F 00A31F45

000000000000a224 <label_2009>:
	s_add_u32 s90, s91, s90                                    // 00000000A224: 805A5A5B
	s_and_b32 s60, s72, 0xff                                   // 00000000A228: 863CFF48 000000FF
	v_mov_b32_e32 v42, s60                                     // 00000000A230: 7E54023C
	v_lshrrev_b32_e32 v240, 4, v0                              // 00000000A234: 21E00084
	v_mul_i32_i24_e32 v240, 4, v240                            // 00000000A238: 0DE1E084
	s_mul_i32 s60, s7, 16                                      // 00000000A23C: 923C9007
	v_add_u32_e32 v240, s60, v240                              // 00000000A240: 69E1E03C
	v_add_u32_e32 v241, 1, v240                                // 00000000A244: 69E3E081
	v_add_u32_e32 v242, 2, v240                                // 00000000A248: 69E5E082
	v_add_u32_e32 v243, 3, v240                                // 00000000A24C: 69E7E083
	v_mov_b32_e32 v41, 0xff800000                              // 00000000A250: 7E5202FF FF800000
	v_cmp_lt_u32_e64 s[40:41], v240, v42                       // 00000000A258: D0C90028 000255F0
	v_add_u32_e32 v240, 64, v240                               // 00000000A260: 69E1E0C0
	s_nop 0                                                    // 00000000A264: BF800000
	v_cndmask_b32_e64 v128, v41, v128, s[40:41]                // 00000000A268: D1000080 00A30129
	v_cmp_lt_u32_e64 s[40:41], v241, v42                       // 00000000A270: D0C90028 000255F1
	v_add_u32_e32 v241, 64, v241                               // 00000000A278: 69E3E2C0
	s_nop 0                                                    // 00000000A27C: BF800000
	v_cndmask_b32_e64 v129, v41, v129, s[40:41]                // 00000000A280: D1000081 00A30329
	v_cmp_lt_u32_e64 s[40:41], v242, v42                       // 00000000A288: D0C90028 000255F2
	v_add_u32_e32 v242, 64, v242                               // 00000000A290: 69E5E4C0
	s_nop 0                                                    // 00000000A294: BF800000
	v_cndmask_b32_e64 v130, v41, v130, s[40:41]                // 00000000A298: D1000082 00A30529
	v_cmp_lt_u32_e64 s[40:41], v243, v42                       // 00000000A2A0: D0C90028 000255F3
	v_add_u32_e32 v243, 64, v243                               // 00000000A2A8: 69E7E6C0
	s_nop 0                                                    // 00000000A2AC: BF800000
	v_cndmask_b32_e64 v131, v41, v131, s[40:41]                // 00000000A2B0: D1000083 00A30729
	v_cmp_lt_u32_e64 s[40:41], v240, v42                       // 00000000A2B8: D0C90028 000255F0
	v_add_u32_e32 v240, 64, v240                               // 00000000A2C0: 69E1E0C0
	s_nop 0                                                    // 00000000A2C4: BF800000
	v_cndmask_b32_e64 v132, v41, v132, s[40:41]                // 00000000A2C8: D1000084 00A30929
	v_cmp_lt_u32_e64 s[40:41], v241, v42                       // 00000000A2D0: D0C90028 000255F1
	v_add_u32_e32 v241, 64, v241                               // 00000000A2D8: 69E3E2C0
	s_nop 0                                                    // 00000000A2DC: BF800000
	v_cndmask_b32_e64 v133, v41, v133, s[40:41]                // 00000000A2E0: D1000085 00A30B29
	v_cmp_lt_u32_e64 s[40:41], v242, v42                       // 00000000A2E8: D0C90028 000255F2
	v_add_u32_e32 v242, 64, v242                               // 00000000A2F0: 69E5E4C0
	s_nop 0                                                    // 00000000A2F4: BF800000
	v_cndmask_b32_e64 v134, v41, v134, s[40:41]                // 00000000A2F8: D1000086 00A30D29
	v_cmp_lt_u32_e64 s[40:41], v243, v42                       // 00000000A300: D0C90028 000255F3
	v_add_u32_e32 v243, 64, v243                               // 00000000A308: 69E7E6C0
	s_nop 0                                                    // 00000000A30C: BF800000
	v_cndmask_b32_e64 v135, v41, v135, s[40:41]                // 00000000A310: D1000087 00A30F29
	v_cmp_lt_u32_e64 s[40:41], v240, v42                       // 00000000A318: D0C90028 000255F0
	v_add_u32_e32 v240, 64, v240                               // 00000000A320: 69E1E0C0
	s_nop 0                                                    // 00000000A324: BF800000
	v_cndmask_b32_e64 v136, v41, v136, s[40:41]                // 00000000A328: D1000088 00A31129
	v_cmp_lt_u32_e64 s[40:41], v241, v42                       // 00000000A330: D0C90028 000255F1
	v_add_u32_e32 v241, 64, v241                               // 00000000A338: 69E3E2C0
	s_nop 0                                                    // 00000000A33C: BF800000
	v_cndmask_b32_e64 v137, v41, v137, s[40:41]                // 00000000A340: D1000089 00A31329
	v_cmp_lt_u32_e64 s[40:41], v242, v42                       // 00000000A348: D0C90028 000255F2
	v_add_u32_e32 v242, 64, v242                               // 00000000A350: 69E5E4C0
	s_nop 0                                                    // 00000000A354: BF800000
	v_cndmask_b32_e64 v138, v41, v138, s[40:41]                // 00000000A358: D100008A 00A31529
	v_cmp_lt_u32_e64 s[40:41], v243, v42                       // 00000000A360: D0C90028 000255F3
	v_add_u32_e32 v243, 64, v243                               // 00000000A368: 69E7E6C0
	s_nop 0                                                    // 00000000A36C: BF800000
	v_cndmask_b32_e64 v139, v41, v139, s[40:41]                // 00000000A370: D100008B 00A31729
	v_cmp_lt_u32_e64 s[40:41], v240, v42                       // 00000000A378: D0C90028 000255F0
	v_add_u32_e32 v240, 64, v240                               // 00000000A380: 69E1E0C0
	s_nop 0                                                    // 00000000A384: BF800000
	v_cndmask_b32_e64 v140, v41, v140, s[40:41]                // 00000000A388: D100008C 00A31929
	v_cmp_lt_u32_e64 s[40:41], v241, v42                       // 00000000A390: D0C90028 000255F1
	v_add_u32_e32 v241, 64, v241                               // 00000000A398: 69E3E2C0
	s_nop 0                                                    // 00000000A39C: BF800000
	v_cndmask_b32_e64 v141, v41, v141, s[40:41]                // 00000000A3A0: D100008D 00A31B29
	v_cmp_lt_u32_e64 s[40:41], v242, v42                       // 00000000A3A8: D0C90028 000255F2
	v_add_u32_e32 v242, 64, v242                               // 00000000A3B0: 69E5E4C0
	s_nop 0                                                    // 00000000A3B4: BF800000
	v_cndmask_b32_e64 v142, v41, v142, s[40:41]                // 00000000A3B8: D100008E 00A31D29
	v_cmp_lt_u32_e64 s[40:41], v243, v42                       // 00000000A3C0: D0C90028 000255F3
	v_add_u32_e32 v243, 64, v243                               // 00000000A3C8: 69E7E6C0
	s_nop 0                                                    // 00000000A3CC: BF800000
	v_cndmask_b32_e64 v143, v41, v143, s[40:41]                // 00000000A3D0: D100008F 00A31F29
	v_mov_b32_e32 v62, v128                                    // 00000000A3D8: 7E7C0380
	v_max3_f32 v62, v128, v129, v62                            // 00000000A3DC: D1D3003E 04FB0380
	v_max3_f32 v62, v130, v131, v62                            // 00000000A3E4: D1D3003E 04FB0782
	v_max3_f32 v62, v132, v133, v62                            // 00000000A3EC: D1D3003E 04FB0B84
	v_max3_f32 v62, v134, v135, v62                            // 00000000A3F4: D1D3003E 04FB0F86
	v_max3_f32 v62, v136, v137, v62                            // 00000000A3FC: D1D3003E 04FB1388
	v_max3_f32 v62, v138, v139, v62                            // 00000000A404: D1D3003E 04FB178A
	v_max3_f32 v62, v140, v141, v62                            // 00000000A40C: D1D3003E 04FB1B8C
	v_max3_f32 v62, v142, v143, v62                            // 00000000A414: D1D3003E 04FB1F8E
	ds_write_b32 v11, v62 offset:16896                         // 00000000A41C: D81A4200 00003E0B
	v_mul_u32_u24_dpp v41, v19, v68 row_newbcast:1 row_mask:0xf bank_mask:0xf// 00000000A424: 105288FA FF015113
	v_mul_u32_u24_dpp v42, v19, v68 row_newbcast:5 row_mask:0xf bank_mask:0xf// 00000000A42C: 105488FA FF015513
	v_mul_u32_u24_dpp v43, v19, v68 row_newbcast:9 row_mask:0xf bank_mask:0xf// 00000000A434: 105688FA FF015913
	v_mul_u32_u24_dpp v44, v19, v68 row_newbcast:13 row_mask:0xf bank_mask:0xf// 00000000A43C: 105888FA FF015D13
	v_add_u32_e32 v33, v41, v7                                 // 00000000A444: 68420F29
	v_add_u32_e32 v34, v42, v7                                 // 00000000A448: 68440F2A
	v_add_u32_e32 v35, v43, v7                                 // 00000000A44C: 68460F2B
	v_add_u32_e32 v36, v44, v7                                 // 00000000A450: 68480F2C
	v_mul_f32_e32 v224, v63, v224                              // 00000000A454: 0BC1C13F
	v_mul_f32_e32 v225, v63, v225                              // 00000000A458: 0BC3C33F
	v_mul_f32_e32 v226, v63, v226                              // 00000000A45C: 0BC5C53F
	v_mul_f32_e32 v227, v63, v227                              // 00000000A460: 0BC7C73F
	v_mul_f32_e32 v228, v63, v228                              // 00000000A464: 0BC9C93F
	v_mul_f32_e32 v229, v63, v229                              // 00000000A468: 0BCBCB3F
	v_mul_f32_e32 v230, v63, v230                              // 00000000A46C: 0BCDCD3F
	v_mul_f32_e32 v231, v63, v231                              // 00000000A470: 0BCFCF3F
	s_waitcnt lgkmcnt(0)                                       // 00000000A474: BF8CC07F
	s_barrier                                                  // 00000000A478: BF8A0000
	ds_read_b32 v80, v10 offset:16896                          // 00000000A47C: D86C4200 5000000A
	ds_read_b32 v81, v10 offset:16960                          // 00000000A484: D86C4240 5100000A
	ds_read_b32 v82, v10 offset:17024                          // 00000000A48C: D86C4280 5200000A
	ds_read_b32 v83, v10 offset:17088                          // 00000000A494: D86C42C0 5300000A
	ds_read_b32 v84, v10 offset:17152                          // 00000000A49C: D86C4300 5400000A
	ds_read_b32 v85, v10 offset:17216                          // 00000000A4A4: D86C4340 5500000A
	ds_read_b32 v86, v10 offset:17280                          // 00000000A4AC: D86C4380 5600000A
	ds_read_b32 v87, v10 offset:17344                          // 00000000A4B4: D86C43C0 5700000A
	ds_read_b32 v88, v10 offset:17408                          // 00000000A4BC: D86C4400 5800000A
	ds_read_b32 v89, v10 offset:17472                          // 00000000A4C4: D86C4440 5900000A
	ds_read_b32 v90, v10 offset:17536                          // 00000000A4CC: D86C4480 5A00000A
	ds_read_b32 v91, v10 offset:17600                          // 00000000A4D4: D86C44C0 5B00000A
	ds_read_b32 v92, v10 offset:17664                          // 00000000A4DC: D86C4500 5C00000A
	ds_read_b32 v93, v10 offset:17728                          // 00000000A4E4: D86C4540 5D00000A
	ds_read_b32 v94, v10 offset:17792                          // 00000000A4EC: D86C4580 5E00000A
	ds_read_b32 v95, v10 offset:17856                          // 00000000A4F4: D86C45C0 5F00000A
	v_cvt_f32_i32_e32 v192, v192                               // 00000000A4FC: 7F800BC0
	v_cvt_f32_i32_e32 v193, v193                               // 00000000A500: 7F820BC1
	v_cvt_f32_i32_e32 v194, v194                               // 00000000A504: 7F840BC2
	v_cvt_f32_i32_e32 v195, v195                               // 00000000A508: 7F860BC3
	v_cvt_f32_i32_e32 v196, v196                               // 00000000A50C: 7F880BC4
	v_cvt_f32_i32_e32 v197, v197                               // 00000000A510: 7F8A0BC5
	v_cvt_f32_i32_e32 v198, v198                               // 00000000A514: 7F8C0BC6
	v_cvt_f32_i32_e32 v199, v199                               // 00000000A518: 7F8E0BC7
	v_mul_f32_e32 v192, v58, v192                              // 00000000A51C: 0B81813A
	v_mul_f32_e32 v193, v58, v193                              // 00000000A520: 0B83833A
	v_mul_f32_e32 v194, v58, v194                              // 00000000A524: 0B85853A
	v_mul_f32_e32 v195, v58, v195                              // 00000000A528: 0B87873A
	v_mul_f32_e32 v196, v58, v196                              // 00000000A52C: 0B89893A
	v_mul_f32_e32 v197, v58, v197                              // 00000000A530: 0B8B8B3A
	v_mul_f32_e32 v198, v58, v198                              // 00000000A534: 0B8D8D3A
	v_mul_f32_e32 v199, v58, v199                              // 00000000A538: 0B8F8F3A
	s_waitcnt lgkmcnt(0)                                       // 00000000A53C: BF8CC07F
	v_max3_f32 v62, v80, v81, v62                              // 00000000A540: D1D3003E 04FAA350
	v_max3_f32 v62, v82, v83, v62                              // 00000000A548: D1D3003E 04FAA752
	v_max3_f32 v62, v84, v85, v62                              // 00000000A550: D1D3003E 04FAAB54
	v_max3_f32 v62, v86, v87, v62                              // 00000000A558: D1D3003E 04FAAF56
	v_max3_f32 v62, v88, v89, v62                              // 00000000A560: D1D3003E 04FAB358
	v_max3_f32 v62, v90, v91, v62                              // 00000000A568: D1D3003E 04FAB75A
	v_max3_f32 v62, v92, v93, v62                              // 00000000A570: D1D3003E 04FABB5C
	v_max3_f32 v62, v94, v95, v62                              // 00000000A578: D1D3003E 04FABF5E
	v_mov_b32_e32 v41, 0xff800000                              // 00000000A580: 7E5202FF FF800000
	v_cmp_eq_u32_e64 s[40:41], v41, v14                        // 00000000A588: D0CA0028 00021D29
	s_nop 1                                                    // 00000000A590: BF800001
	v_max_f32_e32 v18, v62, v14                                // 00000000A594: 16241D3E
	v_mul_f32_e32 v67, s64, v18                                // 00000000A598: 0A862440
	v_fma_f32 v128, v128, s64, -v67                            // 00000000A59C: D1CB0080 850C8180
	v_fma_f32 v129, v129, s64, -v67                            // 00000000A5A4: D1CB0081 850C8181
	v_fma_f32 v130, v130, s64, -v67                            // 00000000A5AC: D1CB0082 850C8182
	v_fma_f32 v131, v131, s64, -v67                            // 00000000A5B4: D1CB0083 850C8183
	v_fma_f32 v132, v132, s64, -v67                            // 00000000A5BC: D1CB0084 850C8184
	v_fma_f32 v133, v133, s64, -v67                            // 00000000A5C4: D1CB0085 850C8185
	v_fma_f32 v134, v134, s64, -v67                            // 00000000A5CC: D1CB0086 850C8186
	v_fma_f32 v135, v135, s64, -v67                            // 00000000A5D4: D1CB0087 850C8187
	v_fma_f32 v136, v136, s64, -v67                            // 00000000A5DC: D1CB0088 850C8188
	v_fma_f32 v137, v137, s64, -v67                            // 00000000A5E4: D1CB0089 850C8189
	v_fma_f32 v138, v138, s64, -v67                            // 00000000A5EC: D1CB008A 850C818A
	v_fma_f32 v139, v139, s64, -v67                            // 00000000A5F4: D1CB008B 850C818B
	v_fma_f32 v140, v140, s64, -v67                            // 00000000A5FC: D1CB008C 850C818C
	v_fma_f32 v141, v141, s64, -v67                            // 00000000A604: D1CB008D 850C818D
	v_fma_f32 v142, v142, s64, -v67                            // 00000000A60C: D1CB008E 850C818E
	v_fma_f32 v143, v143, s64, -v67                            // 00000000A614: D1CB008F 850C818F
	v_exp_f32_e32 v128, v128                                   // 00000000A61C: 7F004180
	v_exp_f32_e32 v129, v129                                   // 00000000A620: 7F024181
	v_exp_f32_e32 v130, v130                                   // 00000000A624: 7F044182
	v_exp_f32_e32 v131, v131                                   // 00000000A628: 7F064183
	v_exp_f32_e32 v132, v132                                   // 00000000A62C: 7F084184
	v_exp_f32_e32 v133, v133                                   // 00000000A630: 7F0A4185
	v_exp_f32_e32 v134, v134                                   // 00000000A634: 7F0C4186
	v_exp_f32_e32 v135, v135                                   // 00000000A638: 7F0E4187
	v_exp_f32_e32 v136, v136                                   // 00000000A63C: 7F104188
	v_exp_f32_e32 v137, v137                                   // 00000000A640: 7F124189
	v_exp_f32_e32 v138, v138                                   // 00000000A644: 7F14418A
	v_exp_f32_e32 v139, v139                                   // 00000000A648: 7F16418B
	v_exp_f32_e32 v140, v140                                   // 00000000A64C: 7F18418C
	v_exp_f32_e32 v141, v141                                   // 00000000A650: 7F1A418D
	v_exp_f32_e32 v142, v142                                   // 00000000A654: 7F1C418E
	v_exp_f32_e32 v143, v143                                   // 00000000A658: 7F1E418F
	v_mul_f32_dpp v240, v252, v128 quad_perm:[0,0,0,0] row_mask:0xf bank_mask:0xf// 00000000A65C: 0BE100FA FF0000FC
	v_mul_f32_dpp v241, v252, v129 quad_perm:[1,1,1,1] row_mask:0xf bank_mask:0xf// 00000000A664: 0BE302FA FF0055FC
	v_mul_f32_dpp v242, v252, v130 quad_perm:[2,2,2,2] row_mask:0xf bank_mask:0xf// 00000000A66C: 0BE504FA FF00AAFC
	v_mul_f32_dpp v243, v252, v131 quad_perm:[3,3,3,3] row_mask:0xf bank_mask:0xf// 00000000A674: 0BE706FA FF00FFFC
	v_mul_f32_dpp v244, v253, v132 quad_perm:[0,0,0,0] row_mask:0xf bank_mask:0xf// 00000000A67C: 0BE908FA FF0000FD
	v_mul_f32_dpp v245, v253, v133 quad_perm:[1,1,1,1] row_mask:0xf bank_mask:0xf// 00000000A684: 0BEB0AFA FF0055FD
	v_mul_f32_dpp v246, v253, v134 quad_perm:[2,2,2,2] row_mask:0xf bank_mask:0xf// 00000000A68C: 0BED0CFA FF00AAFD
	v_mul_f32_dpp v247, v253, v135 quad_perm:[3,3,3,3] row_mask:0xf bank_mask:0xf// 00000000A694: 0BEF0EFA FF00FFFD
	v_mul_f32_dpp v248, v254, v136 quad_perm:[0,0,0,0] row_mask:0xf bank_mask:0xf// 00000000A69C: 0BF110FA FF0000FE
	v_mul_f32_dpp v249, v254, v137 quad_perm:[1,1,1,1] row_mask:0xf bank_mask:0xf// 00000000A6A4: 0BF312FA FF0055FE
	v_mul_f32_dpp v250, v254, v138 quad_perm:[2,2,2,2] row_mask:0xf bank_mask:0xf// 00000000A6AC: 0BF514FA FF00AAFE
	v_mul_f32_dpp v251, v254, v139 quad_perm:[3,3,3,3] row_mask:0xf bank_mask:0xf// 00000000A6B4: 0BF716FA FF00FFFE
	v_mul_f32_dpp v252, v255, v140 quad_perm:[0,0,0,0] row_mask:0xf bank_mask:0xf// 00000000A6BC: 0BF918FA FF0000FF
	v_mul_f32_dpp v253, v255, v141 quad_perm:[1,1,1,1] row_mask:0xf bank_mask:0xf// 00000000A6C4: 0BFB1AFA FF0055FF
	v_mul_f32_dpp v254, v255, v142 quad_perm:[2,2,2,2] row_mask:0xf bank_mask:0xf// 00000000A6CC: 0BFD1CFA FF00AAFF
	v_mul_f32_dpp v255, v255, v143 quad_perm:[3,3,3,3] row_mask:0xf bank_mask:0xf// 00000000A6D4: 0BFF1EFA FF00FFFF
	v_mov_b32_e32 v62, 0x358637bd                              // 00000000A6DC: 7E7C02FF 358637BD
	v_max3_f32 v62, |v240|, |v241|, v62                        // 00000000A6E4: D1D3033E 04FBE3F0
	v_max3_f32 v62, |v242|, |v243|, v62                        // 00000000A6EC: D1D3033E 04FBE7F2
	v_max3_f32 v62, |v244|, |v245|, v62                        // 00000000A6F4: D1D3033E 04FBEBF4
	v_max3_f32 v62, |v246|, |v247|, v62                        // 00000000A6FC: D1D3033E 04FBEFF6
	v_max3_f32 v62, |v248|, |v249|, v62                        // 00000000A704: D1D3033E 04FBF3F8
	v_max3_f32 v62, |v250|, |v251|, v62                        // 00000000A70C: D1D3033E 04FBF7FA
	v_max3_f32 v62, |v252|, |v253|, v62                        // 00000000A714: D1D3033E 04FBFBFC
	v_max3_f32 v62, |v254|, |v255|, v62                        // 00000000A71C: D1D3033E 04FBFFFE
	ds_write_b32 v11, v62 offset:20992                         // 00000000A724: D81A5200 00003E0B
	v_sub_f32_e32 v63, v14, v18                                // 00000000A72C: 047E250E
	v_cndmask_b32_e64 v63, v63, 0, s[40:41]                    // 00000000A730: D100003F 00A1013F
	v_mov_b32_e32 v14, v18                                     // 00000000A738: 7E1C0312
	v_mul_f32_e32 v63, s64, v63                                // 00000000A73C: 0A7E7E40
	v_exp_f32_e32 v63, v63                                     // 00000000A740: 7E7E413F
	s_waitcnt lgkmcnt(0)                                       // 00000000A744: BF8CC07F
	s_barrier                                                  // 00000000A748: BF8A0000
	ds_read_b32 v80, v10 offset:20992                          // 00000000A74C: D86C5200 5000000A
	ds_read_b32 v81, v10 offset:21056                          // 00000000A754: D86C5240 5100000A
	ds_read_b32 v82, v10 offset:21120                          // 00000000A75C: D86C5280 5200000A
	ds_read_b32 v83, v10 offset:21184                          // 00000000A764: D86C52C0 5300000A
	ds_read_b32 v84, v10 offset:21248                          // 00000000A76C: D86C5300 5400000A
	ds_read_b32 v85, v10 offset:21312                          // 00000000A774: D86C5340 5500000A
	ds_read_b32 v86, v10 offset:21376                          // 00000000A77C: D86C5380 5600000A
	ds_read_b32 v87, v10 offset:21440                          // 00000000A784: D86C53C0 5700000A
	ds_read_b32 v88, v10 offset:21504                          // 00000000A78C: D86C5400 5800000A
	ds_read_b32 v89, v10 offset:21568                          // 00000000A794: D86C5440 5900000A
	ds_read_b32 v90, v10 offset:21632                          // 00000000A79C: D86C5480 5A00000A
	ds_read_b32 v91, v10 offset:21696                          // 00000000A7A4: D86C54C0 5B00000A
	ds_read_b32 v92, v10 offset:21760                          // 00000000A7AC: D86C5500 5C00000A
	ds_read_b32 v93, v10 offset:21824                          // 00000000A7B4: D86C5540 5D00000A
	ds_read_b32 v94, v10 offset:21888                          // 00000000A7BC: D86C5580 5E00000A
	ds_read_b32 v95, v10 offset:21952                          // 00000000A7C4: D86C55C0 5F00000A
	v_mul_f32_e32 v47, v63, v47                                // 00000000A7CC: 0A5E5F3F
	v_mov_b32_e32 v18, v128                                    // 00000000A7D0: 7E240380
	v_add_f32_e32 v18, v129, v18                               // 00000000A7D4: 02242581
	v_add_f32_e32 v18, v130, v18                               // 00000000A7D8: 02242582
	v_add_f32_e32 v18, v131, v18                               // 00000000A7DC: 02242583
	v_add_f32_e32 v18, v132, v18                               // 00000000A7E0: 02242584
	v_add_f32_e32 v18, v133, v18                               // 00000000A7E4: 02242585
	v_add_f32_e32 v18, v134, v18                               // 00000000A7E8: 02242586
	v_add_f32_e32 v18, v135, v18                               // 00000000A7EC: 02242587
	v_add_f32_e32 v18, v136, v18                               // 00000000A7F0: 02242588
	v_add_f32_e32 v18, v137, v18                               // 00000000A7F4: 02242589
	v_add_f32_e32 v18, v138, v18                               // 00000000A7F8: 0224258A
	v_add_f32_e32 v18, v139, v18                               // 00000000A7FC: 0224258B
	v_add_f32_e32 v18, v140, v18                               // 00000000A800: 0224258C
	v_add_f32_e32 v18, v141, v18                               // 00000000A804: 0224258D
	v_add_f32_e32 v18, v142, v18                               // 00000000A808: 0224258E
	v_add_f32_e32 v18, v143, v18                               // 00000000A80C: 0224258F
	v_add_f32_e32 v47, v18, v47                                // 00000000A810: 025E5F12
	s_waitcnt lgkmcnt(0)                                       // 00000000A814: BF8CC07F
	v_max3_f32 v62, |v80|, |v81|, v62                          // 00000000A818: D1D3033E 04FAA350
	v_max3_f32 v62, |v82|, |v83|, v62                          // 00000000A820: D1D3033E 04FAA752
	v_max3_f32 v62, |v84|, |v85|, v62                          // 00000000A828: D1D3033E 04FAAB54
	v_max3_f32 v62, |v86|, |v87|, v62                          // 00000000A830: D1D3033E 04FAAF56
	v_max3_f32 v62, |v88|, |v89|, v62                          // 00000000A838: D1D3033E 04FAB358
	v_max3_f32 v62, |v90|, |v91|, v62                          // 00000000A840: D1D3033E 04FAB75A
	v_max3_f32 v62, |v92|, |v93|, v62                          // 00000000A848: D1D3033E 04FABB5C
	v_max3_f32 v62, |v94|, |v95|, v62                          // 00000000A850: D1D3033E 04FABF5E
	s_nop 2                                                    // 00000000A858: BF800002
	v_rcp_f32_e32 v62, v62                                     // 00000000A85C: 7E7C453E
	s_nop 1                                                    // 00000000A860: BF800001
	v_mul_f32_e32 v62, 0x42fe0000, v62                         // 00000000A864: 0A7C7CFF 42FE0000
	v_mul_f32_e32 v128, v62, v240                              // 00000000A86C: 0B01E13E
	v_mul_f32_e32 v129, v62, v241                              // 00000000A870: 0B03E33E
	v_mul_f32_e32 v130, v62, v242                              // 00000000A874: 0B05E53E
	v_mul_f32_e32 v131, v62, v243                              // 00000000A878: 0B07E73E
	v_mul_f32_e32 v132, v62, v244                              // 00000000A87C: 0B09E93E
	v_mul_f32_e32 v133, v62, v245                              // 00000000A880: 0B0BEB3E
	v_mul_f32_e32 v134, v62, v246                              // 00000000A884: 0B0DED3E
	v_mul_f32_e32 v135, v62, v247                              // 00000000A888: 0B0FEF3E
	v_mul_f32_e32 v136, v62, v248                              // 00000000A88C: 0B11F13E
	v_mul_f32_e32 v137, v62, v249                              // 00000000A890: 0B13F33E
	v_mul_f32_e32 v138, v62, v250                              // 00000000A894: 0B15F53E
	v_mul_f32_e32 v139, v62, v251                              // 00000000A898: 0B17F73E
	v_mul_f32_e32 v140, v62, v252                              // 00000000A89C: 0B19F93E
	v_mul_f32_e32 v141, v62, v253                              // 00000000A8A0: 0B1BFB3E
	v_mul_f32_e32 v142, v62, v254                              // 00000000A8A4: 0B1DFD3E
	v_mul_f32_e32 v143, v62, v255                              // 00000000A8A8: 0B1FFF3E
	v_cvt_i32_f32_e32 v128, v128                               // 00000000A8AC: 7F001180
	v_cvt_i32_f32_e32 v129, v129                               // 00000000A8B0: 7F021181
	v_cvt_i32_f32_e32 v130, v130                               // 00000000A8B4: 7F041182
	v_cvt_i32_f32_e32 v131, v131                               // 00000000A8B8: 7F061183
	v_cvt_i32_f32_e32 v132, v132                               // 00000000A8BC: 7F081184
	v_cvt_i32_f32_e32 v133, v133                               // 00000000A8C0: 7F0A1185
	v_cvt_i32_f32_e32 v134, v134                               // 00000000A8C4: 7F0C1186
	v_cvt_i32_f32_e32 v135, v135                               // 00000000A8C8: 7F0E1187
	v_cvt_i32_f32_e32 v136, v136                               // 00000000A8CC: 7F101188
	v_cvt_i32_f32_e32 v137, v137                               // 00000000A8D0: 7F121189
	v_cvt_i32_f32_e32 v138, v138                               // 00000000A8D4: 7F14118A
	v_cvt_i32_f32_e32 v139, v139                               // 00000000A8D8: 7F16118B
	v_cvt_i32_f32_e32 v140, v140                               // 00000000A8DC: 7F18118C
	v_cvt_i32_f32_e32 v141, v141                               // 00000000A8E0: 7F1A118D
	v_cvt_i32_f32_e32 v142, v142                               // 00000000A8E4: 7F1C118E
	v_cvt_i32_f32_e32 v143, v143                               // 00000000A8E8: 7F1E118F
	v_perm_b32 v128, v129, v128, s53                           // 00000000A8EC: D1ED0080 00D70181
	v_perm_b32 v128, v130, v128, s54                           // 00000000A8F4: D1ED0080 00DB0182
	v_perm_b32 v128, v131, v128, s55                           // 00000000A8FC: D1ED0080 00DF0183
	v_perm_b32 v129, v133, v132, s53                           // 00000000A904: D1ED0081 00D70985
	v_perm_b32 v129, v134, v129, s54                           // 00000000A90C: D1ED0081 00DB0386
	v_perm_b32 v129, v135, v129, s55                           // 00000000A914: D1ED0081 00DF0387
	v_perm_b32 v130, v137, v136, s53                           // 00000000A91C: D1ED0082 00D71189
	v_perm_b32 v130, v138, v130, s54                           // 00000000A924: D1ED0082 00DB058A
	v_perm_b32 v130, v139, v130, s55                           // 00000000A92C: D1ED0082 00DF058B
	v_perm_b32 v131, v141, v140, s53                           // 00000000A934: D1ED0083 00D7198D
	v_perm_b32 v131, v142, v131, s54                           // 00000000A93C: D1ED0083 00DB078E
	v_perm_b32 v131, v143, v131, s55                           // 00000000A944: D1ED0083 00DF078F
	ds_write_b32 v13, v128 offset:25088                        // 00000000A94C: D81A6200 0000800D
	ds_write_b32 v13, v129 offset:26112                        // 00000000A954: D81A6600 0000810D
	ds_write_b32 v13, v130 offset:27136                        // 00000000A95C: D81A6A00 0000820D
	ds_write_b32 v13, v131 offset:28160                        // 00000000A964: D81A6E00 0000830D
	v_add_f32_e32 v224, v224, v192                             // 00000000A96C: 03C181E0
	v_add_f32_e32 v225, v225, v193                             // 00000000A970: 03C383E1
	v_add_f32_e32 v226, v226, v194                             // 00000000A974: 03C585E2
	v_add_f32_e32 v227, v227, v195                             // 00000000A978: 03C787E3
	v_add_f32_e32 v228, v228, v196                             // 00000000A97C: 03C989E4
	v_add_f32_e32 v229, v229, v197                             // 00000000A980: 03CB8BE5
	v_add_f32_e32 v230, v230, v198                             // 00000000A984: 03CD8DE6
	v_add_f32_e32 v231, v231, v199                             // 00000000A988: 03CF8FE7
	v_rcp_f32_e32 v58, v62                                     // 00000000A98C: 7E74453E
	s_waitcnt lgkmcnt(0)                                       // 00000000A990: BF8CC07F
	s_barrier                                                  // 00000000A994: BF8A0000
	ds_read_b64 v[128:129], v12 offset:25088                   // 00000000A998: D8EC6200 8000000C
	ds_read_b64 v[130:131], v12 offset:25216                   // 00000000A9A0: D8EC6280 8200000C
	ds_read_b64 v[132:133], v12 offset:26112                   // 00000000A9A8: D8EC6600 8400000C
	ds_read_b64 v[134:135], v12 offset:26240                   // 00000000A9B0: D8EC6680 8600000C
	ds_read_b64 v[136:137], v12 offset:27136                   // 00000000A9B8: D8EC6A00 8800000C
	ds_read_b64 v[138:139], v12 offset:27264                   // 00000000A9C0: D8EC6A80 8A00000C
	ds_read_b64 v[140:141], v12 offset:28160                   // 00000000A9C8: D8EC6E00 8C00000C
	ds_read_b64 v[142:143], v12 offset:28288                   // 00000000A9D0: D8EC6E80 8E00000C
	s_waitcnt vmcnt(0)                                         // 00000000A9D8: BF8C0F70
	s_barrier                                                  // 00000000A9DC: BF8A0000
	s_waitcnt lgkmcnt(7)                                       // 00000000A9E0: BF8CC77F
	v_mfma_i32_16x16x32_i8 v[192:195], a[96:97], v[128:129], 0 // 00000000A9E4: D3D700C0 0A030160
	s_waitcnt lgkmcnt(6)                                       // 00000000A9EC: BF8CC67F
	v_mfma_i32_16x16x32_i8 v[192:195], a[98:99], v[130:131], v[192:195]// 00000000A9F0: D3D700C0 0F030562
	s_waitcnt lgkmcnt(5)                                       // 00000000A9F8: BF8CC57F
	v_mfma_i32_16x16x32_i8 v[192:195], a[100:101], v[132:133], v[192:195]// 00000000A9FC: D3D700C0 0F030964
	s_waitcnt lgkmcnt(4)                                       // 00000000AA04: BF8CC47F
	v_mfma_i32_16x16x32_i8 v[192:195], a[102:103], v[134:135], v[192:195]// 00000000AA08: D3D700C0 0F030D66
	s_waitcnt lgkmcnt(3)                                       // 00000000AA10: BF8CC37F
	v_mfma_i32_16x16x32_i8 v[192:195], a[104:105], v[136:137], v[192:195]// 00000000AA14: D3D700C0 0F031168
	s_waitcnt lgkmcnt(2)                                       // 00000000AA1C: BF8CC27F
	v_mfma_i32_16x16x32_i8 v[192:195], a[106:107], v[138:139], v[192:195]// 00000000AA20: D3D700C0 0F03156A
	s_waitcnt lgkmcnt(1)                                       // 00000000AA28: BF8CC17F
	v_mfma_i32_16x16x32_i8 v[192:195], a[108:109], v[140:141], v[192:195]// 00000000AA2C: D3D700C0 0F03196C
	s_waitcnt lgkmcnt(0)                                       // 00000000AA34: BF8CC07F
	v_mfma_i32_16x16x32_i8 v[192:195], a[110:111], v[142:143], v[192:195]// 00000000AA38: D3D700C0 0F031D6E
	v_mfma_i32_16x16x32_i8 v[196:199], a[112:113], v[128:129], 0// 00000000AA40: D3D700C4 0A030170
	v_mfma_i32_16x16x32_i8 v[196:199], a[114:115], v[130:131], v[196:199]// 00000000AA48: D3D700C4 0F130572
	v_mfma_i32_16x16x32_i8 v[196:199], a[116:117], v[132:133], v[196:199]// 00000000AA50: D3D700C4 0F130974
	v_mfma_i32_16x16x32_i8 v[196:199], a[118:119], v[134:135], v[196:199]// 00000000AA58: D3D700C4 0F130D76
	v_mfma_i32_16x16x32_i8 v[196:199], a[120:121], v[136:137], v[196:199]// 00000000AA60: D3D700C4 0F131178
	v_mfma_i32_16x16x32_i8 v[196:199], a[122:123], v[138:139], v[196:199]// 00000000AA68: D3D700C4 0F13157A
	v_mfma_i32_16x16x32_i8 v[196:199], a[124:125], v[140:141], v[196:199]// 00000000AA70: D3D700C4 0F13197C
	v_mfma_i32_16x16x32_i8 v[196:199], a[126:127], v[142:143], v[196:199]// 00000000AA78: D3D700C4 0F131D7E
	s_nop 4                                                    // 00000000AA80: BF800004
	s_branch label_2222                                        // 00000000AA84: BF820000

000000000000aa88 <label_2222>:
	v_mul_f32_e32 v224, v63, v224                              // 00000000AA88: 0BC1C13F
	v_mul_f32_e32 v225, v63, v225                              // 00000000AA8C: 0BC3C33F
	v_mul_f32_e32 v226, v63, v226                              // 00000000AA90: 0BC5C53F
	v_mul_f32_e32 v227, v63, v227                              // 00000000AA94: 0BC7C73F
	v_mul_f32_e32 v228, v63, v228                              // 00000000AA98: 0BC9C93F
	v_mul_f32_e32 v229, v63, v229                              // 00000000AA9C: 0BCBCB3F
	v_mul_f32_e32 v230, v63, v230                              // 00000000AAA0: 0BCDCD3F
	v_mul_f32_e32 v231, v63, v231                              // 00000000AAA4: 0BCFCF3F
	v_cvt_f32_i32_e32 v192, v192                               // 00000000AAA8: 7F800BC0
	v_cvt_f32_i32_e32 v193, v193                               // 00000000AAAC: 7F820BC1
	v_cvt_f32_i32_e32 v194, v194                               // 00000000AAB0: 7F840BC2
	v_cvt_f32_i32_e32 v195, v195                               // 00000000AAB4: 7F860BC3
	v_cvt_f32_i32_e32 v196, v196                               // 00000000AAB8: 7F880BC4
	v_cvt_f32_i32_e32 v197, v197                               // 00000000AABC: 7F8A0BC5
	v_cvt_f32_i32_e32 v198, v198                               // 00000000AAC0: 7F8C0BC6
	v_cvt_f32_i32_e32 v199, v199                               // 00000000AAC4: 7F8E0BC7
	v_mul_f32_e32 v192, v58, v192                              // 00000000AAC8: 0B81813A
	v_mul_f32_e32 v193, v58, v193                              // 00000000AACC: 0B83833A
	v_mul_f32_e32 v194, v58, v194                              // 00000000AAD0: 0B85853A
	v_mul_f32_e32 v195, v58, v195                              // 00000000AAD4: 0B87873A
	v_mul_f32_e32 v196, v58, v196                              // 00000000AAD8: 0B89893A
	v_mul_f32_e32 v197, v58, v197                              // 00000000AADC: 0B8B8B3A
	v_mul_f32_e32 v198, v58, v198                              // 00000000AAE0: 0B8D8D3A
	v_mul_f32_e32 v199, v58, v199                              // 00000000AAE4: 0B8F8F3A
	v_add_f32_e32 v224, v224, v192                             // 00000000AAE8: 03C181E0
	v_add_f32_e32 v225, v225, v193                             // 00000000AAEC: 03C383E1
	v_add_f32_e32 v226, v226, v194                             // 00000000AAF0: 03C585E2
	v_add_f32_e32 v227, v227, v195                             // 00000000AAF4: 03C787E3
	v_add_f32_e32 v228, v228, v196                             // 00000000AAF8: 03C989E4
	v_add_f32_e32 v229, v229, v197                             // 00000000AAFC: 03CB8BE5
	v_add_f32_e32 v230, v230, v198                             // 00000000AB00: 03CD8DE6
	v_add_f32_e32 v231, v231, v199                             // 00000000AB04: 03CF8FE7
	ds_write_b32 v11, v47 offset:16896                         // 00000000AB08: D81A4200 00002F0B
	s_waitcnt lgkmcnt(0)                                       // 00000000AB10: BF8CC07F
	s_barrier                                                  // 00000000AB14: BF8A0000
	ds_read_b32 v80, v10 offset:16896                          // 00000000AB18: D86C4200 5000000A
	ds_read_b32 v81, v10 offset:16960                          // 00000000AB20: D86C4240 5100000A
	ds_read_b32 v82, v10 offset:17024                          // 00000000AB28: D86C4280 5200000A
	ds_read_b32 v83, v10 offset:17088                          // 00000000AB30: D86C42C0 5300000A
	ds_read_b32 v84, v10 offset:17152                          // 00000000AB38: D86C4300 5400000A
	ds_read_b32 v85, v10 offset:17216                          // 00000000AB40: D86C4340 5500000A
	ds_read_b32 v86, v10 offset:17280                          // 00000000AB48: D86C4380 5600000A
	ds_read_b32 v87, v10 offset:17344                          // 00000000AB50: D86C43C0 5700000A
	ds_read_b32 v88, v10 offset:17408                          // 00000000AB58: D86C4400 5800000A
	ds_read_b32 v89, v10 offset:17472                          // 00000000AB60: D86C4440 5900000A
	ds_read_b32 v90, v10 offset:17536                          // 00000000AB68: D86C4480 5A00000A
	ds_read_b32 v91, v10 offset:17600                          // 00000000AB70: D86C44C0 5B00000A
	ds_read_b32 v92, v10 offset:17664                          // 00000000AB78: D86C4500 5C00000A
	ds_read_b32 v93, v10 offset:17728                          // 00000000AB80: D86C4540 5D00000A
	ds_read_b32 v94, v10 offset:17792                          // 00000000AB88: D86C4580 5E00000A
	ds_read_b32 v95, v10 offset:17856                          // 00000000AB90: D86C45C0 5F00000A
	s_waitcnt lgkmcnt(0)                                       // 00000000AB98: BF8CC07F
	v_mov_b32_e32 v47, 0                                       // 00000000AB9C: 7E5E0280
	v_add_f32_e32 v47, v80, v47                                // 00000000ABA0: 025E5F50
	v_add_f32_e32 v47, v81, v47                                // 00000000ABA4: 025E5F51
	v_add_f32_e32 v47, v82, v47                                // 00000000ABA8: 025E5F52
	v_add_f32_e32 v47, v83, v47                                // 00000000ABAC: 025E5F53
	v_add_f32_e32 v47, v84, v47                                // 00000000ABB0: 025E5F54
	v_add_f32_e32 v47, v85, v47                                // 00000000ABB4: 025E5F55
	v_add_f32_e32 v47, v86, v47                                // 00000000ABB8: 025E5F56
	v_add_f32_e32 v47, v87, v47                                // 00000000ABBC: 025E5F57
	v_add_f32_e32 v47, v88, v47                                // 00000000ABC0: 025E5F58
	v_add_f32_e32 v47, v89, v47                                // 00000000ABC4: 025E5F59
	v_add_f32_e32 v47, v90, v47                                // 00000000ABC8: 025E5F5A
	v_add_f32_e32 v47, v91, v47                                // 00000000ABCC: 025E5F5B
	v_add_f32_e32 v47, v92, v47                                // 00000000ABD0: 025E5F5C
	v_add_f32_e32 v47, v93, v47                                // 00000000ABD4: 025E5F5D
	v_add_f32_e32 v47, v94, v47                                // 00000000ABD8: 025E5F5E
	v_add_f32_e32 v47, v95, v47                                // 00000000ABDC: 025E5F5F
	s_nop 1                                                    // 00000000ABE0: BF800001
	v_rcp_f32_e32 v47, v47                                     // 00000000ABE4: 7E5E452F
	s_nop 1                                                    // 00000000ABE8: BF800001
	v_mul_f32_e32 v224, v47, v224                              // 00000000ABEC: 0BC1C12F
	v_mul_f32_e32 v225, v47, v225                              // 00000000ABF0: 0BC3C32F
	v_mul_f32_e32 v226, v47, v226                              // 00000000ABF4: 0BC5C52F
	v_mul_f32_e32 v227, v47, v227                              // 00000000ABF8: 0BC7C72F
	v_mul_f32_e32 v228, v47, v228                              // 00000000ABFC: 0BC9C92F
	v_mul_f32_e32 v229, v47, v229                              // 00000000AC00: 0BCBCB2F
	v_mul_f32_e32 v230, v47, v230                              // 00000000AC04: 0BCDCD2F
	v_mul_f32_e32 v231, v47, v231                              // 00000000AC08: 0BCFCF2F
	v_cmp_u_f32_e64 s[40:41], v224, v224                       // 00000000AC0C: D0480028 0003C1E0
	v_add3_u32 v21, v224, v24, 1                               // 00000000AC14: D1FF0015 020631E0
	v_cndmask_b32_e64 v41, v21, v23, s[40:41]                  // 00000000AC1C: D1000029 00A22F15
	v_cmp_u_f32_e64 s[40:41], v225, v225                       // 00000000AC24: D0480028 0003C3E1
	v_add3_u32 v21, v225, v24, 1                               // 00000000AC2C: D1FF0015 020631E1
	v_cndmask_b32_e64 v42, v21, v23, s[40:41]                  // 00000000AC34: D100002A 00A22F15
	v_perm_b32 v224, v42, v41, s52                             // 00000000AC3C: D1ED00E0 00D2532A
	v_cmp_u_f32_e64 s[40:41], v226, v226                       // 00000000AC44: D0480028 0003C5E2
	v_add3_u32 v21, v226, v24, 1                               // 00000000AC4C: D1FF0015 020631E2
	v_cndmask_b32_e64 v41, v21, v23, s[40:41]                  // 00000000AC54: D1000029 00A22F15
	v_cmp_u_f32_e64 s[40:41], v227, v227                       // 00000000AC5C: D0480028 0003C7E3
	v_add3_u32 v21, v227, v24, 1                               // 00000000AC64: D1FF0015 020631E3
	v_cndmask_b32_e64 v42, v21, v23, s[40:41]                  // 00000000AC6C: D100002A 00A22F15
	v_perm_b32 v225, v42, v41, s52                             // 00000000AC74: D1ED00E1 00D2532A
	v_cmp_u_f32_e64 s[40:41], v228, v228                       // 00000000AC7C: D0480028 0003C9E4
	v_add3_u32 v21, v228, v24, 1                               // 00000000AC84: D1FF0015 020631E4
	v_cndmask_b32_e64 v41, v21, v23, s[40:41]                  // 00000000AC8C: D1000029 00A22F15
	v_cmp_u_f32_e64 s[40:41], v229, v229                       // 00000000AC94: D0480028 0003CBE5
	v_add3_u32 v21, v229, v24, 1                               // 00000000AC9C: D1FF0015 020631E5
	v_cndmask_b32_e64 v42, v21, v23, s[40:41]                  // 00000000ACA4: D100002A 00A22F15
	v_perm_b32 v226, v42, v41, s52                             // 00000000ACAC: D1ED00E2 00D2532A
	v_cmp_u_f32_e64 s[40:41], v230, v230                       // 00000000ACB4: D0480028 0003CDE6
	v_add3_u32 v21, v230, v24, 1                               // 00000000ACBC: D1FF0015 020631E6
	v_cndmask_b32_e64 v41, v21, v23, s[40:41]                  // 00000000ACC4: D1000029 00A22F15
	v_cmp_u_f32_e64 s[40:41], v231, v231                       // 00000000ACCC: D0480028 0003CFE7
	v_add3_u32 v21, v231, v24, 1                               // 00000000ACD4: D1FF0015 020631E7
	v_cndmask_b32_e64 v42, v21, v23, s[40:41]                  // 00000000ACDC: D100002A 00A22F15
	v_perm_b32 v227, v42, v41, s52                             // 00000000ACE4: D1ED00E3 00D2532A
	s_nop 1                                                    // 00000000ACEC: BF800001
	v_lshrrev_b32_e32 v41, 4, v0                               // 00000000ACF0: 20520084
	v_mul_i32_i24_e32 v45, 34, v41                             // 00000000ACF4: 0C5A52A2
	v_and_b32_e32 v41, 15, v0                                  // 00000000ACF8: 2652008F
	v_mul_i32_i24_e32 v42, 2, v41                              // 00000000ACFC: 0C545282
	v_add_u32_e32 v45, v42, v45                                // 00000000AD00: 685A5B2A
	s_mul_i32 s60, s7, 0x88                                    // 00000000AD04: 923CFF07 00000088
	v_add_u32_e32 v45, s60, v45                                // 00000000AD0C: 685A5A3C
	v_lshlrev_b32_e32 v45, 2, v45                              // 00000000AD10: 245A5A82
	ds_write_b64 v45, v[224:225] offset:41472                  // 00000000AD14: D89AA200 0000E02D
	ds_write_b64 v45, v[226:227] offset:43648                  // 00000000AD1C: D89AAA80 0000E22D
	v_lshrrev_b32_e32 v41, 1, v0                               // 00000000AD24: 20520081
	v_mul_i32_i24_e32 v45, 34, v41                             // 00000000AD28: 0C5A52A2
	v_and_b32_e32 v42, 1, v0                                   // 00000000AD2C: 26540081
	v_add_u32_e32 v45, v42, v45                                // 00000000AD30: 685A5B2A
	s_mul_i32 s60, s7, 2                                       // 00000000AD34: 923C8207
	v_add_u32_e32 v45, s60, v45                                // 00000000AD38: 685A5A3C
	v_lshlrev_b32_e32 v45, 2, v45                              // 00000000AD3C: 245A5A82
	s_waitcnt lgkmcnt(0)                                       // 00000000AD40: BF8CC07F
	s_barrier                                                  // 00000000AD44: BF8A0000
	ds_read_b32 v224, v45 offset:41472                         // 00000000AD48: D86CA200 E000002D
	ds_read_b32 v225, v45 offset:41504                         // 00000000AD50: D86CA220 E100002D
	ds_read_b32 v226, v45 offset:41536                         // 00000000AD58: D86CA240 E200002D
	ds_read_b32 v227, v45 offset:41568                         // 00000000AD60: D86CA260 E300002D
	s_mul_i32 s60, s7, 0x100                                   // 00000000AD68: 923CFF07 00000100
	v_lshlrev_b32_e32 v41, 2, v0                               // 00000000AD70: 24520082
	v_add_u32_e64 v41, v41, s60                                // 00000000AD74: D1340029 00007929
	s_waitcnt lgkmcnt(0)                                       // 00000000AD7C: BF8CC07F
	buffer_store_dword v224, v41, s[8:11], 0 offen             // 00000000AD80: E0701000 8002E029
	buffer_store_dword v225, v41, s[8:11], 0 offen offset:1024 // 00000000AD88: E0701400 8002E129
	s_add_u32 s8, s75, s8                                      // 00000000AD90: 8008084B
	s_addc_u32 s9, 0, s9                                       // 00000000AD94: 82090980
	buffer_store_dword v226, v41, s[8:11], 0 offen             // 00000000AD98: E0701000 8002E229
	buffer_store_dword v227, v41, s[8:11], 0 offen offset:1024 // 00000000ADA0: E0701400 8002E329
	s_add_u32 s8, s75, s8                                      // 00000000ADA8: 8008084B
	s_addc_u32 s9, 0, s9                                       // 00000000ADAC: 82090980
	s_branch label_4AC6                                        // 00000000ADB0: BF8227D9

000000000000adb4 <label_22ED>:
	s_mov_b32 s88, 0xa0                                        // 00000000ADB4: BED800FF 000000A0

000000000000adbc <label_22EF>:
	s_mul_i32 s60, s3, s65                                     // 00000000ADBC: 923C4103
	s_mul_i32 s60, s60, 4                                      // 00000000ADC0: 923C843C
	s_add_u32 s24, s60, s24                                    // 00000000ADC4: 8018183C
	s_addc_u32 s25, 0, s25                                     // 00000000ADC8: 82191980
	s_sub_u32 s89, s72, s86                                    // 00000000ADCC: 80D95648
	s_mov_b32 s90, 0xff                                        // 00000000ADD0: BEDA00FF 000000FF
	s_mov_b32 s91, 0x100                                       // 00000000ADD8: BEDB00FF 00000100
	s_mov_b32 s56, 64                                          // 00000000ADE0: BEB800C0
	s_add_u32 s73, s72, 15                                     // 00000000ADE4: 80498F48
	s_lshr_b32 s73, s73, 4                                     // 00000000ADE8: 8F498449
	s_mul_i32 s60, s73, 4                                      // 00000000ADEC: 923C8449
	s_mov_b32 s26, s60                                         // 00000000ADF0: BE9A003C
	v_and_b32_e32 v42, 3, v0                                   // 00000000ADF4: 26540083
	v_cmp_eq_u32_e64 s[60:61], 0, v42                          // 00000000ADF8: D0CA003C 00025480
	v_and_b32_e32 v41, 12, v0                                  // 00000000AE00: 2652008C
	v_add_u32_e32 v1, s7, v41                                  // 00000000AE04: 68025207
	v_cndmask_b32_e64 v1, 0, v1, s[60:61]                      // 00000000AE08: D1000001 00F20280
	v_and_b32_e32 v42, 3, v0                                   // 00000000AE10: 26540083
	v_cmp_eq_u32_e64 s[60:61], 1, v42                          // 00000000AE14: D0CA003C 00025481
	v_lshrrev_b32_e32 v41, 4, v0                               // 00000000AE1C: 20520084
	v_and_b32_e32 v42, 12, v0                                  // 00000000AE20: 2654008C
	v_add_u32_e32 v41, v42, v41                                // 00000000AE24: 6852532A
	v_cndmask_b32_e64 v41, 0, v41, s[60:61]                    // 00000000AE28: D1000029 00F25280
	v_add_u32_e32 v1, v1, v41                                  // 00000000AE30: 68025301
	v_lshlrev_b32_e32 v1, 2, v1                                // 00000000AE34: 24020282
	buffer_load_dword v19, v1, s[24:27], 0 offen               // 00000000AE38: E0501000 80061301
	v_add_u32_e32 v1, s56, v1                                  // 00000000AE40: 68020238
	buffer_load_dword v20, v1, s[24:27], 0 offen               // 00000000AE44: E0501000 80061401
	s_cmp_le_u32 s73, 32                                       // 00000000AE4C: BF0BA049
	s_cselect_b32 s56, 0, s56                                  // 00000000AE50: 85383880
	s_mul_i32 s60, s2, s67                                     // 00000000AE54: 923C4302
	s_mul_i32 s61, s84, s74                                    // 00000000AE58: 923D4A54
	s_add_u32 s60, s60, s61                                    // 00000000AE5C: 803C3D3C
	s_add_u32 s12, s60, s12                                    // 00000000AE60: 800C0C3C
	s_addc_u32 s13, 0, s13                                     // 00000000AE64: 820D0D80
	s_mul_i32 s60, s7, 0x108                                   // 00000000AE68: 923CFF07 00000108
	s_add_u32 m0, 0, s60                                       // 00000000AE70: 807C3C80
	s_mul_i32 s60, s7, 0x100                                   // 00000000AE74: 923CFF07 00000100
	v_lshlrev_b32_e32 v41, 2, v0                               // 00000000AE7C: 24520082
	v_add_u32_e64 v41, v41, s60                                // 00000000AE80: D1340029 00007929
	v_add_u32_e32 v42, 0x400, v41                              // 00000000AE88: 685452FF 00000400
	buffer_load_dword v41, s[12:15], 0 offen lds               // 00000000AE90: E0511000 80030029
	s_mul_i32 s60, 4, 0x108                                    // 00000000AE98: 923CFF84 00000108
	s_add_u32 m0, m0, s60                                      // 00000000AEA0: 807C3C7C
	buffer_load_dword v42, s[12:15], 0 offen lds               // 00000000AEA4: E0511000 8003002A
	s_mul_i32 s60, 4, 0x108                                    // 00000000AEAC: 923CFF84 00000108
	s_add_u32 m0, m0, s60                                      // 00000000AEB4: 807C3C7C
	s_add_u32 s12, s74, s12                                    // 00000000AEB8: 800C0C4A
	s_addc_u32 s13, 0, s13                                     // 00000000AEBC: 820D0D80
	buffer_load_dword v41, s[12:15], 0 offen lds               // 00000000AEC0: E0511000 80030029
	s_mul_i32 s60, 4, 0x108                                    // 00000000AEC8: 923CFF84 00000108
	s_add_u32 m0, m0, s60                                      // 00000000AED0: 807C3C7C
	buffer_load_dword v42, s[12:15], 0 offen lds               // 00000000AED4: E0511000 8003002A
	s_mul_i32 s60, 4, 0x108                                    // 00000000AEDC: 923CFF84 00000108
	s_add_u32 m0, m0, s60                                      // 00000000AEE4: 807C3C7C
	s_add_u32 s12, s74, s12                                    // 00000000AEE8: 800C0C4A
	s_addc_u32 s13, 0, s13                                     // 00000000AEEC: 820D0D80
	buffer_load_dword v41, s[12:15], 0 offen lds               // 00000000AEF0: E0511000 80030029
	s_mul_i32 s60, 4, 0x108                                    // 00000000AEF8: 923CFF84 00000108
	s_add_u32 m0, m0, s60                                      // 00000000AF00: 807C3C7C
	buffer_load_dword v42, s[12:15], 0 offen lds               // 00000000AF04: E0511000 8003002A
	s_mul_i32 s60, 4, 0x108                                    // 00000000AF0C: 923CFF84 00000108
	s_add_u32 m0, m0, s60                                      // 00000000AF14: 807C3C7C
	s_add_u32 s12, s74, s12                                    // 00000000AF18: 800C0C4A
	s_addc_u32 s13, 0, s13                                     // 00000000AF1C: 820D0D80
	buffer_load_dword v41, s[12:15], 0 offen lds               // 00000000AF20: E0511000 80030029
	s_mul_i32 s60, 4, 0x108                                    // 00000000AF28: 923CFF84 00000108
	s_add_u32 m0, m0, s60                                      // 00000000AF30: 807C3C7C
	buffer_load_dword v42, s[12:15], 0 offen lds               // 00000000AF34: E0511000 8003002A
	s_mul_i32 s60, 4, 0x108                                    // 00000000AF3C: 923CFF84 00000108
	s_add_u32 m0, m0, s60                                      // 00000000AF44: 807C3C7C
	s_add_u32 s12, s74, s12                                    // 00000000AF48: 800C0C4A
	s_addc_u32 s13, 0, s13                                     // 00000000AF4C: 820D0D80
	v_lshrrev_b32_e32 v41, 4, v0                               // 00000000AF50: 20520084
	v_lshlrev_b32_e32 v41, 2, v41                              // 00000000AF54: 24525282
	v_and_b32_e32 v42, 3, v0                                   // 00000000AF58: 26540083
	v_add_u32_e32 v41, v42, v41                                // 00000000AF5C: 6852532A
	v_lshlrev_b32_e32 v74, 2, v41                              // 00000000AF60: 24945282
	v_mov_b32_e32 v75, v74                                     // 00000000AF64: 7E96034A
	s_mul_i32 s60, s2, 64                                      // 00000000AF68: 923CC002
	s_add_u32 s32, s60, s32                                    // 00000000AF6C: 8020203C
	s_addc_u32 s33, 0, s33                                     // 00000000AF70: 82212180
	s_add_u32 s36, s60, s36                                    // 00000000AF74: 8024243C
	s_addc_u32 s37, 0, s37                                     // 00000000AF78: 82252580
	s_mul_i32 s60, s2, s76                                     // 00000000AF7C: 923C4C02
	s_mul_i32 s61, s84, s75                                    // 00000000AF80: 923D4B54
	s_add_u32 s60, s60, s61                                    // 00000000AF84: 803C3D3C
	s_add_u32 s8, s60, s8                                      // 00000000AF88: 8008083C
	s_addc_u32 s9, 0, s9                                       // 00000000AF8C: 82090980
	s_mov_b32 s70, 0                                           // 00000000AF90: BEC60080
	s_and_b32 s71, s72, 0xffffff00                             // 00000000AF94: 8647FF48 FFFFFF00
	s_mov_b32 s42, 0xff00ff00                                  // 00000000AF9C: BEAA00FF FF00FF00
	s_mov_b32 s43, 0xff00ff00                                  // 00000000AFA4: BEAB00FF FF00FF00
	s_mov_b32 s44, 0xf0f0f0f0                                  // 00000000AFAC: BEAC00FF F0F0F0F0
	s_mov_b32 s45, 0xf0f0f0f0                                  // 00000000AFB4: BEAD00FF F0F0F0F0
	s_mov_b32 s78, 0xff00ff                                    // 00000000AFBC: BECE00FF 00FF00FF
	s_mov_b32 s79, 0xff00ff                                    // 00000000AFC4: BECF00FF 00FF00FF
	v_mul_i32_i24_e64 v78, 64, s66                             // 00000000AFCC: D106004E 000084C0
	v_mov_b32_e32 v68, s68                                     // 00000000AFD4: 7E880244
	s_mov_b32 s52, 0x7060302                                   // 00000000AFD8: BEB400FF 07060302
	s_mov_b32 s53, 0x400                                       // 00000000AFE0: BEB500FF 00000400
	s_mov_b32 s54, 0x40100                                     // 00000000AFE8: BEB600FF 00040100
	s_mov_b32 s55, 0x4020100                                   // 00000000AFF0: BEB700FF 04020100
	s_mov_b32 s6, 0x3fb8aa3b                                   // 00000000AFF8: BE8600FF 3FB8AA3B
	v_mov_b32_e32 v14, 0xff800000                              // 00000000B000: 7E1C02FF FF800000
	v_mov_b32_e32 v15, 0xff800000                              // 00000000B008: 7E1E02FF FF800000
	v_mov_b32_e32 v63, 0                                       // 00000000B010: 7E7E0280
	v_mov_b32_e32 v64, 0                                       // 00000000B014: 7E800280
	v_mov_b32_e32 v47, 0                                       // 00000000B018: 7E5E0280
	v_mov_b32_e32 v48, 0                                       // 00000000B01C: 7E600280
	v_mov_b32_e32 v58, 0                                       // 00000000B020: 7E740280
	v_mov_b32_e32 v59, 0                                       // 00000000B024: 7E760280
	v_mov_b32_e32 v22, 0xffff0000                              // 00000000B028: 7E2C02FF FFFF0000
	v_mov_b32_e32 v23, 0x7fff0000                              // 00000000B030: 7E2E02FF 7FFF0000
	v_mov_b32_e32 v24, 0x7fff                                  // 00000000B038: 7E3002FF 00007FFF
	v_add_u32_e32 v1, s56, v1                                  // 00000000B040: 68020238
	v_and_b32_e32 v10, 15, v0                                  // 00000000B044: 2614008F
	v_lshlrev_b32_e32 v10, 2, v10                              // 00000000B048: 24141482
	v_lshlrev_b32_e32 v11, 2, v0                               // 00000000B04C: 24160082
	s_mul_i32 s60, 0x100, s7                                   // 00000000B050: 923C07FF 00000100
	v_add_u32_e32 v11, s60, v11                                // 00000000B058: 6816163C
	v_lshrrev_b32_e32 v41, 4, v0                               // 00000000B05C: 20520084
	v_lshlrev_b32_e32 v42, 6, v41                              // 00000000B060: 24545286
	v_and_b32_e32 v41, 15, v0                                  // 00000000B064: 2652008F
	v_lshlrev_b32_e32 v41, 1, v41                              // 00000000B068: 24525281
	v_add_u32_e32 v42, v41, v42                                // 00000000B06C: 68545529
	v_lshlrev_b32_e32 v12, 2, v42                              // 00000000B070: 24185482
	v_lshrrev_b32_e32 v41, 5, v0                               // 00000000B074: 20520085
	v_lshlrev_b32_e32 v42, 5, v41                              // 00000000B078: 24545285
	v_and_b32_e32 v41, 31, v0                                  // 00000000B07C: 2652009F
	v_lshrrev_b32_e32 v43, 4, v41                              // 00000000B080: 20565284
	v_add_u32_e32 v42, v43, v42                                // 00000000B084: 6854552B
	v_and_b32_e32 v41, 15, v0                                  // 00000000B088: 2652008F
	v_lshlrev_b32_e32 v41, 1, v41                              // 00000000B08C: 24525281
	v_add_u32_e32 v42, v41, v42                                // 00000000B090: 68545529
	v_lshlrev_b32_e32 v41, 2, v42                              // 00000000B094: 24525482
	s_mul_i32 s60, 0x100, s7                                   // 00000000B098: 923C07FF 00000100
	v_add_u32_e64 v13, v41, s60                                // 00000000B0A0: D134000D 00007929
	v_lshlrev_b32_e32 v6, 4, v0                                // 00000000B0A8: 240C0084
	s_mul_i32 s60, s2, s69                                     // 00000000B0AC: 923C4502
	s_add_u32 s16, s60, s16                                    // 00000000B0B0: 8010103C
	s_addc_u32 s17, 0, s17                                     // 00000000B0B4: 82111180
	v_and_b32_e32 v41, 15, v0                                  // 00000000B0B8: 2652008F
	v_lshlrev_b32_e32 v7, 4, v41                               // 00000000B0BC: 240E5284
	s_mul_i32 s61, s2, s69                                     // 00000000B0C0: 923D4502
	s_mul_i32 s60, s7, 0x100                                   // 00000000B0C4: 923CFF07 00000100
	s_add_u32 s60, s60, s61                                    // 00000000B0CC: 803C3D3C
	s_add_u32 s20, s60, s20                                    // 00000000B0D0: 8014143C
	s_addc_u32 s21, 0, s21                                     // 00000000B0D4: 82151580
	s_waitcnt vmcnt(4)                                         // 00000000B0D8: BF8C0F74
	v_mul_u32_u24_dpp v41, v19, v68 row_newbcast:0 row_mask:0xf bank_mask:0xf// 00000000B0DC: 105288FA FF015013
	v_mul_u32_u24_dpp v42, v19, v68 row_newbcast:4 row_mask:0xf bank_mask:0xf// 00000000B0E4: 105488FA FF015413
	v_mul_u32_u24_dpp v43, v19, v68 row_newbcast:8 row_mask:0xf bank_mask:0xf// 00000000B0EC: 105688FA FF015813
	v_mul_u32_u24_dpp v44, v19, v68 row_newbcast:12 row_mask:0xf bank_mask:0xf// 00000000B0F4: 105888FA FF015C13
	v_add_u32_e32 v25, v41, v6                                 // 00000000B0FC: 68320D29
	v_add_u32_e32 v26, v42, v6                                 // 00000000B100: 68340D2A
	v_add_u32_e32 v27, v43, v6                                 // 00000000B104: 68360D2B
	v_add_u32_e32 v28, v44, v6                                 // 00000000B108: 68380D2C
	v_mul_u32_u24_dpp v41, v19, v68 row_newbcast:1 row_mask:0xf bank_mask:0xf// 00000000B10C: 105288FA FF015113
	v_mul_u32_u24_dpp v42, v19, v68 row_newbcast:5 row_mask:0xf bank_mask:0xf// 00000000B114: 105488FA FF015513
	v_mul_u32_u24_dpp v43, v19, v68 row_newbcast:9 row_mask:0xf bank_mask:0xf// 00000000B11C: 105688FA FF015913
	v_mul_u32_u24_dpp v44, v19, v68 row_newbcast:13 row_mask:0xf bank_mask:0xf// 00000000B124: 105888FA FF015D13
	v_add_u32_e32 v33, v41, v7                                 // 00000000B12C: 68420F29
	v_add_u32_e32 v34, v42, v7                                 // 00000000B130: 68440F2A
	v_add_u32_e32 v35, v43, v7                                 // 00000000B134: 68460F2B
	v_add_u32_e32 v36, v44, v7                                 // 00000000B138: 68480F2C
	v_mul_u32_u24_dpp v41, v19, v78 quad_perm:[0,0,0,0] row_mask:0xf bank_mask:0xf// 00000000B13C: 10529CFA FF000013
	v_add_u32_e32 v2, v41, v74                                 // 00000000B144: 68049529
	v_mul_u32_u24_dpp v41, v19, v78 quad_perm:[0,0,0,0] row_mask:0xf bank_mask:0xf// 00000000B148: 10529CFA FF000013
	v_add_u32_e32 v70, v41, v75                                // 00000000B150: 688C9729
	buffer_load_dword v52, v2, s[32:35], 0 offen               // 00000000B154: E0501000 80083402
	buffer_load_dwordx4 a[0:3], v25, s[16:19], 0 offen         // 00000000B15C: E05C1000 80840019
	buffer_load_dwordx4 a[4:7], v25, s[16:19], 0 offen offset:1024// 00000000B164: E05C1400 80840419
	buffer_load_dwordx4 a[8:11], v26, s[16:19], 0 offen        // 00000000B16C: E05C1000 8084081A
	buffer_load_dwordx4 a[12:15], v26, s[16:19], 0 offen offset:1024// 00000000B174: E05C1400 80840C1A
	buffer_load_dwordx4 a[16:19], v27, s[16:19], 0 offen       // 00000000B17C: E05C1000 8084101B
	buffer_load_dwordx4 a[20:23], v27, s[16:19], 0 offen offset:1024// 00000000B184: E05C1400 8084141B
	buffer_load_dwordx4 a[24:27], v28, s[16:19], 0 offen       // 00000000B18C: E05C1000 8084181C
	buffer_load_dwordx4 a[28:31], v28, s[16:19], 0 offen offset:1024// 00000000B194: E05C1400 80841C1C
	buffer_load_dword v72, v70, s[36:39], 0 offen              // 00000000B19C: E0501000 80094846
	buffer_load_dwordx4 a[64:67], v33, s[20:23], 0 offen       // 00000000B1A4: E05C1000 80854021
	buffer_load_dwordx4 a[68:71], v34, s[20:23], 0 offen       // 00000000B1AC: E05C1000 80854422
	buffer_load_dwordx4 a[72:75], v35, s[20:23], 0 offen       // 00000000B1B4: E05C1000 80854823
	buffer_load_dwordx4 a[76:79], v36, s[20:23], 0 offen       // 00000000B1BC: E05C1000 80854C24
	buffer_load_dwordx4 a[80:83], v33, s[20:23], 0 offen offset:1024// 00000000B1C4: E05C1400 80855021
	buffer_load_dwordx4 a[84:87], v34, s[20:23], 0 offen offset:1024// 00000000B1CC: E05C1400 80855422
	buffer_load_dwordx4 a[88:91], v35, s[20:23], 0 offen offset:1024// 00000000B1D4: E05C1400 80855823
	buffer_load_dwordx4 a[92:95], v36, s[20:23], 0 offen offset:1024// 00000000B1DC: E05C1400 80855C24
	v_lshrrev_b32_e32 v41, 4, v0                               // 00000000B1E4: 20520084
	v_lshlrev_b32_e32 v42, 1, v41                              // 00000000B1E8: 24545281
	v_and_b32_e32 v41, 15, v0                                  // 00000000B1EC: 2652008F
	v_mul_i32_i24_e32 v41, 0x42, v41                           // 00000000B1F0: 0C5252FF 00000042
	v_add_u32_e32 v42, v41, v42                                // 00000000B1F8: 68545529
	v_lshlrev_b32_e32 v4, 2, v42                               // 00000000B1FC: 24085482
	s_mul_i32 s60, s7, 32                                      // 00000000B200: 923CA007
	v_add_u32_e32 v4, s60, v4                                  // 00000000B204: 6808083C
	s_waitcnt vmcnt(16) lgkmcnt(0)                             // 00000000B208: BF8C4070
	s_barrier                                                  // 00000000B20C: BF8A0000
	ds_read_b64 v[96:97], v4                                   // 00000000B210: D8EC0000 60000004
	ds_read_b64 v[100:101], v4 offset:128                      // 00000000B218: D8EC0080 64000004
	s_waitcnt lgkmcnt(0)                                       // 00000000B220: BF8CC07F
	v_and_b32_e32 v99, 0xffff0000, v97                         // 00000000B224: 26C6C2FF FFFF0000
	v_lshlrev_b32_e32 v98, 16, v97                             // 00000000B22C: 24C4C290
	v_and_b32_e32 v97, 0xffff0000, v96                         // 00000000B230: 26C2C0FF FFFF0000
	v_lshlrev_b32_e32 v96, 16, v96                             // 00000000B238: 24C0C090
	v_and_b32_e32 v103, 0xffff0000, v101                       // 00000000B23C: 26CECAFF FFFF0000
	v_lshlrev_b32_e32 v102, 16, v101                           // 00000000B244: 24CCCA90
	v_and_b32_e32 v101, 0xffff0000, v100                       // 00000000B248: 26CAC8FF FFFF0000
	v_lshlrev_b32_e32 v100, 16, v100                           // 00000000B250: 24C8C890
	v_mov_b32_e32 v62, 0x358637bd                              // 00000000B254: 7E7C02FF 358637BD
	v_max3_f32 v62, |v96|, |v97|, v62                          // 00000000B25C: D1D3033E 04FAC360
	v_max3_f32 v62, |v98|, |v99|, v62                          // 00000000B264: D1D3033E 04FAC762
	v_max3_f32 v62, |v100|, |v101|, v62                        // 00000000B26C: D1D3033E 04FACB64
	v_max3_f32 v62, |v102|, |v103|, v62                        // 00000000B274: D1D3033E 04FACF66
	ds_write_b32 v11, v62 offset:16896                         // 00000000B27C: D81A4200 00003E0B
	s_waitcnt lgkmcnt(0)                                       // 00000000B284: BF8CC07F
	s_barrier                                                  // 00000000B288: BF8A0000
	ds_read_b32 v80, v10 offset:16896                          // 00000000B28C: D86C4200 5000000A
	ds_read_b32 v81, v10 offset:16960                          // 00000000B294: D86C4240 5100000A
	ds_read_b32 v82, v10 offset:17024                          // 00000000B29C: D86C4280 5200000A
	ds_read_b32 v83, v10 offset:17088                          // 00000000B2A4: D86C42C0 5300000A
	ds_read_b32 v84, v10 offset:17152                          // 00000000B2AC: D86C4300 5400000A
	ds_read_b32 v85, v10 offset:17216                          // 00000000B2B4: D86C4340 5500000A
	ds_read_b32 v86, v10 offset:17280                          // 00000000B2BC: D86C4380 5600000A
	ds_read_b32 v87, v10 offset:17344                          // 00000000B2C4: D86C43C0 5700000A
	ds_read_b32 v88, v10 offset:17408                          // 00000000B2CC: D86C4400 5800000A
	ds_read_b32 v89, v10 offset:17472                          // 00000000B2D4: D86C4440 5900000A
	ds_read_b32 v90, v10 offset:17536                          // 00000000B2DC: D86C4480 5A00000A
	ds_read_b32 v91, v10 offset:17600                          // 00000000B2E4: D86C44C0 5B00000A
	ds_read_b32 v92, v10 offset:17664                          // 00000000B2EC: D86C4500 5C00000A
	ds_read_b32 v93, v10 offset:17728                          // 00000000B2F4: D86C4540 5D00000A
	ds_read_b32 v94, v10 offset:17792                          // 00000000B2FC: D86C4580 5E00000A
	ds_read_b32 v95, v10 offset:17856                          // 00000000B304: D86C45C0 5F00000A
	s_waitcnt lgkmcnt(0)                                       // 00000000B30C: BF8CC07F
	v_max3_f32 v62, |v80|, |v81|, v62                          // 00000000B310: D1D3033E 04FAA350
	v_max3_f32 v62, |v82|, |v83|, v62                          // 00000000B318: D1D3033E 04FAA752
	v_max3_f32 v62, |v84|, |v85|, v62                          // 00000000B320: D1D3033E 04FAAB54
	v_max3_f32 v62, |v86|, |v87|, v62                          // 00000000B328: D1D3033E 04FAAF56
	v_max3_f32 v62, |v88|, |v89|, v62                          // 00000000B330: D1D3033E 04FAB358
	v_max3_f32 v62, |v90|, |v91|, v62                          // 00000000B338: D1D3033E 04FAB75A
	v_max3_f32 v62, |v92|, |v93|, v62                          // 00000000B340: D1D3033E 04FABB5C
	v_max3_f32 v62, |v94|, |v95|, v62                          // 00000000B348: D1D3033E 04FABF5E
	v_rcp_f32_e32 v62, v62                                     // 00000000B350: 7E7C453E
	s_nop 1                                                    // 00000000B354: BF800001
	v_mul_f32_e32 v62, 0x42fe0000, v62                         // 00000000B358: 0A7C7CFF 42FE0000
	v_mul_f32_e32 v96, v62, v96                                // 00000000B360: 0AC0C13E
	v_mul_f32_e32 v97, v62, v97                                // 00000000B364: 0AC2C33E
	v_mul_f32_e32 v98, v62, v98                                // 00000000B368: 0AC4C53E
	v_mul_f32_e32 v99, v62, v99                                // 00000000B36C: 0AC6C73E
	v_mul_f32_e32 v100, v62, v100                              // 00000000B370: 0AC8C93E
	v_mul_f32_e32 v101, v62, v101                              // 00000000B374: 0ACACB3E
	v_mul_f32_e32 v102, v62, v102                              // 00000000B378: 0ACCCD3E
	v_mul_f32_e32 v103, v62, v103                              // 00000000B37C: 0ACECF3E
	v_cvt_i32_f32_e32 v96, v96                                 // 00000000B380: 7EC01160
	v_cvt_i32_f32_e32 v97, v97                                 // 00000000B384: 7EC21161
	v_cvt_i32_f32_e32 v98, v98                                 // 00000000B388: 7EC41162
	v_cvt_i32_f32_e32 v99, v99                                 // 00000000B38C: 7EC61163
	v_cvt_i32_f32_e32 v100, v100                               // 00000000B390: 7EC81164
	v_cvt_i32_f32_e32 v101, v101                               // 00000000B394: 7ECA1165
	v_cvt_i32_f32_e32 v102, v102                               // 00000000B398: 7ECC1166
	v_cvt_i32_f32_e32 v103, v103                               // 00000000B39C: 7ECE1167
	v_rcp_f32_e32 v54, v62                                     // 00000000B3A0: 7E6C453E
	v_perm_b32 v96, v97, v96, s53                              // 00000000B3A4: D1ED0060 00D6C161
	v_perm_b32 v96, v98, v96, s54                              // 00000000B3AC: D1ED0060 00DAC162
	v_perm_b32 v96, v99, v96, s55                              // 00000000B3B4: D1ED0060 00DEC163
	v_perm_b32 v97, v101, v100, s53                            // 00000000B3BC: D1ED0061 00D6C965
	v_perm_b32 v97, v102, v97, s54                             // 00000000B3C4: D1ED0061 00DAC366
	v_perm_b32 v97, v103, v97, s55                             // 00000000B3CC: D1ED0061 00DEC367
	ds_write_b32 v13, v96 offset:25088                         // 00000000B3D4: D81A6200 0000600D
	ds_write_b32 v13, v97 offset:26112                         // 00000000B3DC: D81A6600 0000610D
	s_waitcnt lgkmcnt(0)                                       // 00000000B3E4: BF8CC07F
	s_barrier                                                  // 00000000B3E8: BF8A0000
	ds_read_b64 v[96:97], v12 offset:25088                     // 00000000B3EC: D8EC6200 6000000C
	ds_read_b64 v[98:99], v12 offset:25216                     // 00000000B3F4: D8EC6280 6200000C
	ds_read_b64 v[100:101], v12 offset:26112                   // 00000000B3FC: D8EC6600 6400000C
	ds_read_b64 v[102:103], v12 offset:26240                   // 00000000B404: D8EC6680 6600000C
	v_mov_b32_e32 v224, 0                                      // 00000000B40C: 7FC00280
	v_mov_b32_e32 v225, 0                                      // 00000000B410: 7FC20280
	v_mov_b32_e32 v226, 0                                      // 00000000B414: 7FC40280
	v_mov_b32_e32 v227, 0                                      // 00000000B418: 7FC60280
	v_mov_b32_e32 v228, 0                                      // 00000000B41C: 7FC80280
	v_mov_b32_e32 v229, 0                                      // 00000000B420: 7FCA0280
	v_mov_b32_e32 v230, 0                                      // 00000000B424: 7FCC0280
	v_mov_b32_e32 v231, 0                                      // 00000000B428: 7FCE0280
	v_mov_b32_e32 v192, 0                                      // 00000000B42C: 7F800280
	v_mov_b32_e32 v193, 0                                      // 00000000B430: 7F820280
	v_mov_b32_e32 v194, 0                                      // 00000000B434: 7F840280
	v_mov_b32_e32 v195, 0                                      // 00000000B438: 7F860280
	v_mov_b32_e32 v196, 0                                      // 00000000B43C: 7F880280
	v_mov_b32_e32 v197, 0                                      // 00000000B440: 7F8A0280
	v_mov_b32_e32 v198, 0                                      // 00000000B444: 7F8C0280
	v_mov_b32_e32 v199, 0                                      // 00000000B448: 7F8E0280
	ds_read_b64 v[104:105], v4 offset:4224                     // 00000000B44C: D8EC1080 68000004
	ds_read_b64 v[108:109], v4 offset:4352                     // 00000000B454: D8EC1100 6C000004
	s_waitcnt lgkmcnt(0)                                       // 00000000B45C: BF8CC07F
	v_and_b32_e32 v107, 0xffff0000, v105                       // 00000000B460: 26D6D2FF FFFF0000
	v_lshlrev_b32_e32 v106, 16, v105                           // 00000000B468: 24D4D290
	v_and_b32_e32 v105, 0xffff0000, v104                       // 00000000B46C: 26D2D0FF FFFF0000
	v_lshlrev_b32_e32 v104, 16, v104                           // 00000000B474: 24D0D090
	v_and_b32_e32 v111, 0xffff0000, v109                       // 00000000B478: 26DEDAFF FFFF0000
	v_lshlrev_b32_e32 v110, 16, v109                           // 00000000B480: 24DCDA90
	v_and_b32_e32 v109, 0xffff0000, v108                       // 00000000B484: 26DAD8FF FFFF0000
	v_lshlrev_b32_e32 v108, 16, v108                           // 00000000B48C: 24D8D890
	v_mov_b32_e32 v62, 0x358637bd                              // 00000000B490: 7E7C02FF 358637BD
	v_max3_f32 v62, |v104|, |v105|, v62                        // 00000000B498: D1D3033E 04FAD368
	v_max3_f32 v62, |v106|, |v107|, v62                        // 00000000B4A0: D1D3033E 04FAD76A
	v_max3_f32 v62, |v108|, |v109|, v62                        // 00000000B4A8: D1D3033E 04FADB6C
	v_max3_f32 v62, |v110|, |v111|, v62                        // 00000000B4B0: D1D3033E 04FADF6E
	ds_write_b32 v11, v62 offset:16896                         // 00000000B4B8: D81A4200 00003E0B
	s_waitcnt lgkmcnt(0)                                       // 00000000B4C0: BF8CC07F
	s_barrier                                                  // 00000000B4C4: BF8A0000
	ds_read_b32 v80, v10 offset:16896                          // 00000000B4C8: D86C4200 5000000A
	ds_read_b32 v81, v10 offset:16960                          // 00000000B4D0: D86C4240 5100000A
	ds_read_b32 v82, v10 offset:17024                          // 00000000B4D8: D86C4280 5200000A
	ds_read_b32 v83, v10 offset:17088                          // 00000000B4E0: D86C42C0 5300000A
	ds_read_b32 v84, v10 offset:17152                          // 00000000B4E8: D86C4300 5400000A
	ds_read_b32 v85, v10 offset:17216                          // 00000000B4F0: D86C4340 5500000A
	ds_read_b32 v86, v10 offset:17280                          // 00000000B4F8: D86C4380 5600000A
	ds_read_b32 v87, v10 offset:17344                          // 00000000B500: D86C43C0 5700000A
	ds_read_b32 v88, v10 offset:17408                          // 00000000B508: D86C4400 5800000A
	ds_read_b32 v89, v10 offset:17472                          // 00000000B510: D86C4440 5900000A
	ds_read_b32 v90, v10 offset:17536                          // 00000000B518: D86C4480 5A00000A
	ds_read_b32 v91, v10 offset:17600                          // 00000000B520: D86C44C0 5B00000A
	ds_read_b32 v92, v10 offset:17664                          // 00000000B528: D86C4500 5C00000A
	ds_read_b32 v93, v10 offset:17728                          // 00000000B530: D86C4540 5D00000A
	ds_read_b32 v94, v10 offset:17792                          // 00000000B538: D86C4580 5E00000A
	ds_read_b32 v95, v10 offset:17856                          // 00000000B540: D86C45C0 5F00000A
	s_waitcnt lgkmcnt(0)                                       // 00000000B548: BF8CC07F
	v_max3_f32 v62, |v80|, |v81|, v62                          // 00000000B54C: D1D3033E 04FAA350
	v_max3_f32 v62, |v82|, |v83|, v62                          // 00000000B554: D1D3033E 04FAA752
	v_max3_f32 v62, |v84|, |v85|, v62                          // 00000000B55C: D1D3033E 04FAAB54
	v_max3_f32 v62, |v86|, |v87|, v62                          // 00000000B564: D1D3033E 04FAAF56
	v_max3_f32 v62, |v88|, |v89|, v62                          // 00000000B56C: D1D3033E 04FAB358
	v_max3_f32 v62, |v90|, |v91|, v62                          // 00000000B574: D1D3033E 04FAB75A
	v_max3_f32 v62, |v92|, |v93|, v62                          // 00000000B57C: D1D3033E 04FABB5C
	v_max3_f32 v62, |v94|, |v95|, v62                          // 00000000B584: D1D3033E 04FABF5E
	v_rcp_f32_e32 v62, v62                                     // 00000000B58C: 7E7C453E
	s_nop 1                                                    // 00000000B590: BF800001
	v_mul_f32_e32 v62, 0x42fe0000, v62                         // 00000000B594: 0A7C7CFF 42FE0000
	v_mul_f32_e32 v104, v62, v104                              // 00000000B59C: 0AD0D13E
	v_mul_f32_e32 v105, v62, v105                              // 00000000B5A0: 0AD2D33E
	v_mul_f32_e32 v106, v62, v106                              // 00000000B5A4: 0AD4D53E
	v_mul_f32_e32 v107, v62, v107                              // 00000000B5A8: 0AD6D73E
	v_mul_f32_e32 v108, v62, v108                              // 00000000B5AC: 0AD8D93E
	v_mul_f32_e32 v109, v62, v109                              // 00000000B5B0: 0ADADB3E
	v_mul_f32_e32 v110, v62, v110                              // 00000000B5B4: 0ADCDD3E
	v_mul_f32_e32 v111, v62, v111                              // 00000000B5B8: 0ADEDF3E
	v_cvt_i32_f32_e32 v104, v104                               // 00000000B5BC: 7ED01168
	v_cvt_i32_f32_e32 v105, v105                               // 00000000B5C0: 7ED21169
	v_cvt_i32_f32_e32 v106, v106                               // 00000000B5C4: 7ED4116A
	v_cvt_i32_f32_e32 v107, v107                               // 00000000B5C8: 7ED6116B
	v_cvt_i32_f32_e32 v108, v108                               // 00000000B5CC: 7ED8116C
	v_cvt_i32_f32_e32 v109, v109                               // 00000000B5D0: 7EDA116D
	v_cvt_i32_f32_e32 v110, v110                               // 00000000B5D4: 7EDC116E
	v_cvt_i32_f32_e32 v111, v111                               // 00000000B5D8: 7EDE116F
	v_rcp_f32_e32 v55, v62                                     // 00000000B5DC: 7E6E453E
	v_perm_b32 v104, v105, v104, s53                           // 00000000B5E0: D1ED0068 00D6D169
	v_perm_b32 v104, v106, v104, s54                           // 00000000B5E8: D1ED0068 00DAD16A
	v_perm_b32 v104, v107, v104, s55                           // 00000000B5F0: D1ED0068 00DED16B
	v_perm_b32 v105, v109, v108, s53                           // 00000000B5F8: D1ED0069 00D6D96D
	v_perm_b32 v105, v110, v105, s54                           // 00000000B600: D1ED0069 00DAD36E
	v_perm_b32 v105, v111, v105, s55                           // 00000000B608: D1ED0069 00DED36F
	ds_write_b32 v13, v104 offset:25088                        // 00000000B610: D81A6200 0000680D
	ds_write_b32 v13, v105 offset:26112                        // 00000000B618: D81A6600 0000690D
	s_waitcnt lgkmcnt(0)                                       // 00000000B620: BF8CC07F
	s_barrier                                                  // 00000000B624: BF8A0000
	ds_read_b64 v[104:105], v12 offset:25088                   // 00000000B628: D8EC6200 6800000C
	ds_read_b64 v[106:107], v12 offset:25216                   // 00000000B630: D8EC6280 6A00000C
	ds_read_b64 v[108:109], v12 offset:26112                   // 00000000B638: D8EC6600 6C00000C
	ds_read_b64 v[110:111], v12 offset:26240                   // 00000000B640: D8EC6680 6E00000C
	v_mov_b32_e32 v232, 0                                      // 00000000B648: 7FD00280
	v_mov_b32_e32 v233, 0                                      // 00000000B64C: 7FD20280
	v_mov_b32_e32 v234, 0                                      // 00000000B650: 7FD40280
	v_mov_b32_e32 v235, 0                                      // 00000000B654: 7FD60280
	v_mov_b32_e32 v236, 0                                      // 00000000B658: 7FD80280
	v_mov_b32_e32 v237, 0                                      // 00000000B65C: 7FDA0280
	v_mov_b32_e32 v238, 0                                      // 00000000B660: 7FDC0280
	v_mov_b32_e32 v239, 0                                      // 00000000B664: 7FDE0280
	v_mov_b32_e32 v200, 0                                      // 00000000B668: 7F900280
	v_mov_b32_e32 v201, 0                                      // 00000000B66C: 7F920280
	v_mov_b32_e32 v202, 0                                      // 00000000B670: 7F940280
	v_mov_b32_e32 v203, 0                                      // 00000000B674: 7F960280
	v_mov_b32_e32 v204, 0                                      // 00000000B678: 7F980280
	v_mov_b32_e32 v205, 0                                      // 00000000B67C: 7F9A0280
	v_mov_b32_e32 v206, 0                                      // 00000000B680: 7F9C0280
	v_mov_b32_e32 v207, 0                                      // 00000000B684: 7F9E0280
	s_waitcnt vmcnt(8) lgkmcnt(0)                              // 00000000B688: BF8C0078
	s_barrier                                                  // 00000000B68C: BF8A0000
	s_cmp_lt_u32 s73, 16                                       // 00000000B690: BF0A9049
	s_cbranch_scc1 label_3B51                                  // 00000000B694: BF85162B
	s_cmp_lt_i32 s7, 2                                         // 00000000B698: BF048207
	s_cbranch_scc0 label_303E                                  // 00000000B69C: BF840B16

000000000000b6a0 <label_2528>:
	s_waitcnt vmcnt(8) lgkmcnt(0)                              // 00000000B6A0: BF8C0078
	v_mul_u32_u24_dpp v41, v20, v68 row_newbcast:0 row_mask:0xf bank_mask:0xf// 00000000B6A4: 105288FA FF015014
	v_mul_u32_u24_dpp v42, v20, v68 row_newbcast:4 row_mask:0xf bank_mask:0xf// 00000000B6AC: 105488FA FF015414
	v_mul_u32_u24_dpp v43, v20, v68 row_newbcast:8 row_mask:0xf bank_mask:0xf// 00000000B6B4: 105688FA FF015814
	v_mul_u32_u24_dpp v44, v20, v68 row_newbcast:12 row_mask:0xf bank_mask:0xf// 00000000B6BC: 105888FA FF015C14
	v_add_u32_e32 v29, v41, v6                                 // 00000000B6C4: 683A0D29
	v_add_u32_e32 v30, v42, v6                                 // 00000000B6C8: 683C0D2A
	v_add_u32_e32 v31, v43, v6                                 // 00000000B6CC: 683E0D2B
	v_add_u32_e32 v32, v44, v6                                 // 00000000B6D0: 68400D2C
	v_mul_u32_u24_dpp v41, v20, v78 quad_perm:[0,0,0,0] row_mask:0xf bank_mask:0xf// 00000000B6D4: 10529CFA FF000014
	v_add_u32_e32 v3, v41, v74                                 // 00000000B6DC: 68069529
	v_mul_u32_u24_dpp v41, v20, v78 quad_perm:[0,0,0,0] row_mask:0xf bank_mask:0xf// 00000000B6E0: 10529CFA FF000014
	v_add_u32_e32 v71, v41, v75                                // 00000000B6E8: 688E9729
	v_mfma_i32_16x16x32_i8 v[128:131], a[0:1], v[96:97], 0     // 00000000B6EC: D3D70080 0A02C100
	v_mfma_i32_16x16x32_i8 v[128:131], a[2:3], v[98:99], v[128:131]// 00000000B6F4: D3D70080 0E02C502
	buffer_load_dwordx4 a[32:35], v29, s[16:19], 0 offen       // 00000000B6FC: E05C1000 8084201D
	v_mfma_i32_16x16x32_i8 v[128:131], a[4:5], v[100:101], v[128:131]// 00000000B704: D3D70080 0E02C904
	v_mfma_i32_16x16x32_i8 v[128:131], a[6:7], v[102:103], v[128:131]// 00000000B70C: D3D70080 0E02CD06
	buffer_load_dword v19, v1, s[24:27], 0 offen               // 00000000B714: E0501000 80061301
	v_mfma_i32_16x16x32_i8 v[132:135], a[8:9], v[96:97], 0     // 00000000B71C: D3D70084 0A02C108
	v_mfma_i32_16x16x32_i8 v[132:135], a[10:11], v[98:99], v[132:135]// 00000000B724: D3D70084 0E12C50A
	buffer_load_dwordx4 a[36:39], v29, s[16:19], 0 offen offset:1024// 00000000B72C: E05C1400 8084241D
	v_mfma_i32_16x16x32_i8 v[132:135], a[12:13], v[100:101], v[132:135]// 00000000B734: D3D70084 0E12C90C
	v_mfma_i32_16x16x32_i8 v[132:135], a[14:15], v[102:103], v[132:135]// 00000000B73C: D3D70084 0E12CD0E
	v_mfma_i32_16x16x32_i8 v[136:139], a[16:17], v[96:97], 0   // 00000000B744: D3D70088 0A02C110
	v_mfma_i32_16x16x32_i8 v[136:139], a[18:19], v[98:99], v[136:139]// 00000000B74C: D3D70088 0E22C512
	buffer_load_dwordx4 a[40:43], v30, s[16:19], 0 offen       // 00000000B754: E05C1000 8084281E
	v_mfma_i32_16x16x32_i8 v[136:139], a[20:21], v[100:101], v[136:139]// 00000000B75C: D3D70088 0E22C914
	v_mfma_i32_16x16x32_i8 v[136:139], a[22:23], v[102:103], v[136:139]// 00000000B764: D3D70088 0E22CD16
	v_mfma_i32_16x16x32_i8 v[140:143], a[24:25], v[96:97], 0   // 00000000B76C: D3D7008C 0A02C118
	v_mfma_i32_16x16x32_i8 v[140:143], a[26:27], v[98:99], v[140:143]// 00000000B774: D3D7008C 0E32C51A
	buffer_load_dwordx4 a[44:47], v30, s[16:19], 0 offen offset:1024// 00000000B77C: E05C1400 80842C1E
	v_mfma_i32_16x16x32_i8 v[140:143], a[28:29], v[100:101], v[140:143]// 00000000B784: D3D7008C 0E32C91C
	v_mfma_i32_16x16x32_i8 v[140:143], a[30:31], v[102:103], v[140:143]// 00000000B78C: D3D7008C 0E32CD1E
	v_mfma_i32_16x16x32_i8 v[144:147], a[0:1], v[104:105], 0   // 00000000B794: D3D70090 0A02D100
	v_mfma_i32_16x16x32_i8 v[144:147], a[2:3], v[106:107], v[144:147]// 00000000B79C: D3D70090 0E42D502
	v_mfma_i32_16x16x32_i8 v[144:147], a[4:5], v[108:109], v[144:147]// 00000000B7A4: D3D70090 0E42D904
	v_mfma_i32_16x16x32_i8 v[144:147], a[6:7], v[110:111], v[144:147]// 00000000B7AC: D3D70090 0E42DD06
	v_mfma_i32_16x16x32_i8 v[148:151], a[8:9], v[104:105], 0   // 00000000B7B4: D3D70094 0A02D108
	v_mfma_i32_16x16x32_i8 v[148:151], a[10:11], v[106:107], v[148:151]// 00000000B7BC: D3D70094 0E52D50A
	v_mfma_i32_16x16x32_i8 v[148:151], a[12:13], v[108:109], v[148:151]// 00000000B7C4: D3D70094 0E52D90C
	v_mfma_i32_16x16x32_i8 v[148:151], a[14:15], v[110:111], v[148:151]// 00000000B7CC: D3D70094 0E52DD0E
	v_mfma_i32_16x16x32_i8 v[152:155], a[16:17], v[104:105], 0 // 00000000B7D4: D3D70098 0A02D110
	v_mfma_i32_16x16x32_i8 v[152:155], a[18:19], v[106:107], v[152:155]// 00000000B7DC: D3D70098 0E62D512
	v_mfma_i32_16x16x32_i8 v[152:155], a[20:21], v[108:109], v[152:155]// 00000000B7E4: D3D70098 0E62D914
	v_mfma_i32_16x16x32_i8 v[152:155], a[22:23], v[110:111], v[152:155]// 00000000B7EC: D3D70098 0E62DD16
	v_mfma_i32_16x16x32_i8 v[156:159], a[24:25], v[104:105], 0 // 00000000B7F4: D3D7009C 0A02D118
	v_mfma_i32_16x16x32_i8 v[156:159], a[26:27], v[106:107], v[156:159]// 00000000B7FC: D3D7009C 0E72D51A
	v_mfma_i32_16x16x32_i8 v[156:159], a[28:29], v[108:109], v[156:159]// 00000000B804: D3D7009C 0E72D91C
	v_mfma_i32_16x16x32_i8 v[156:159], a[30:31], v[110:111], v[156:159]// 00000000B80C: D3D7009C 0E72DD1E
	buffer_load_dword v53, v3, s[32:35], 0 offen               // 00000000B814: E0501000 80083503
	v_mov_b32_dpp v41, v52 row_shr:4 row_mask:0xf bank_mask:0xf// 00000000B81C: 7E5202FA FF011434
	v_mov_b32_dpp v42, v52 row_shl:4 row_mask:0xf bank_mask:0xf// 00000000B824: 7E5402FA FF010434
	v_cndmask_b32_e64 v248, v52, v41, s[44:45]                 // 00000000B82C: D10000F8 00B25334
	v_cndmask_b32_e64 v249, v42, v52, s[44:45]                 // 00000000B834: D10000F9 00B2692A
	v_mov_b32_dpp v41, v248 row_shr:8 row_mask:0xf bank_mask:0xf// 00000000B83C: 7E5202FA FF0118F8
	v_mov_b32_dpp v42, v248 row_shl:8 row_mask:0xf bank_mask:0xf// 00000000B844: 7E5402FA FF0108F8
	v_mov_b32_dpp v43, v249 row_shr:8 row_mask:0xf bank_mask:0xf// 00000000B84C: 7E5602FA FF0118F9
	v_mov_b32_dpp v44, v249 row_shl:8 row_mask:0xf bank_mask:0xf// 00000000B854: 7E5802FA FF0108F9
	v_mov_b32_e32 v45, v248                                    // 00000000B85C: 7E5A03F8
	v_mov_b32_e32 v46, v249                                    // 00000000B860: 7E5C03F9
	v_cndmask_b32_e64 v248, v45, v41, s[42:43]                 // 00000000B864: D10000F8 00AA532D
	v_cndmask_b32_e64 v250, v45, v42, s[78:79]                 // 00000000B86C: D10000FA 013A552D
	v_cndmask_b32_e64 v249, v46, v43, s[42:43]                 // 00000000B874: D10000F9 00AA572E
	v_cndmask_b32_e64 v251, v46, v44, s[78:79]                 // 00000000B87C: D10000FB 013A592E
	v_mov_b32_dpp v41, v72 row_shr:4 row_mask:0xf bank_mask:0xf// 00000000B884: 7E5202FA FF011448
	v_mov_b32_dpp v42, v72 row_shl:4 row_mask:0xf bank_mask:0xf// 00000000B88C: 7E5402FA FF010448
	v_cndmask_b32_e64 v252, v72, v41, s[44:45]                 // 00000000B894: D10000FC 00B25348
	v_cndmask_b32_e64 v253, v42, v72, s[44:45]                 // 00000000B89C: D10000FD 00B2912A
	v_mov_b32_dpp v41, v252 row_shr:8 row_mask:0xf bank_mask:0xf// 00000000B8A4: 7E5202FA FF0118FC
	v_mov_b32_dpp v42, v252 row_shl:8 row_mask:0xf bank_mask:0xf// 00000000B8AC: 7E5402FA FF0108FC
	v_mov_b32_dpp v43, v253 row_shr:8 row_mask:0xf bank_mask:0xf// 00000000B8B4: 7E5602FA FF0118FD
	v_mov_b32_dpp v44, v253 row_shl:8 row_mask:0xf bank_mask:0xf// 00000000B8BC: 7E5802FA FF0108FD
	v_mov_b32_e32 v45, v252                                    // 00000000B8C4: 7E5A03FC
	v_mov_b32_e32 v46, v253                                    // 00000000B8C8: 7E5C03FD
	v_cndmask_b32_e64 v252, v45, v41, s[42:43]                 // 00000000B8CC: D10000FC 00AA532D
	v_cndmask_b32_e64 v254, v45, v42, s[78:79]                 // 00000000B8D4: D10000FE 013A552D
	v_cndmask_b32_e64 v253, v46, v43, s[42:43]                 // 00000000B8DC: D10000FD 00AA572E
	v_cndmask_b32_e64 v255, v46, v44, s[78:79]                 // 00000000B8E4: D10000FF 013A592E
	buffer_load_dword v73, v71, s[36:39], 0 offen              // 00000000B8EC: E0501000 80094947
	v_cvt_f32_i32_e32 v128, v128                               // 00000000B8F4: 7F000B80
	v_cvt_f32_i32_e32 v129, v129                               // 00000000B8F8: 7F020B81
	v_cvt_f32_i32_e32 v130, v130                               // 00000000B8FC: 7F040B82
	v_cvt_f32_i32_e32 v131, v131                               // 00000000B900: 7F060B83
	v_cvt_f32_i32_e32 v132, v132                               // 00000000B904: 7F080B84
	v_cvt_f32_i32_e32 v133, v133                               // 00000000B908: 7F0A0B85
	v_cvt_f32_i32_e32 v134, v134                               // 00000000B90C: 7F0C0B86
	v_cvt_f32_i32_e32 v135, v135                               // 00000000B910: 7F0E0B87
	v_cvt_f32_i32_e32 v136, v136                               // 00000000B914: 7F100B88
	v_cvt_f32_i32_e32 v137, v137                               // 00000000B918: 7F120B89
	v_cvt_f32_i32_e32 v138, v138                               // 00000000B91C: 7F140B8A
	v_cvt_f32_i32_e32 v139, v139                               // 00000000B920: 7F160B8B
	v_cvt_f32_i32_e32 v140, v140                               // 00000000B924: 7F180B8C
	v_cvt_f32_i32_e32 v141, v141                               // 00000000B928: 7F1A0B8D
	v_cvt_f32_i32_e32 v142, v142                               // 00000000B92C: 7F1C0B8E
	v_cvt_f32_i32_e32 v143, v143                               // 00000000B930: 7F1E0B8F
	v_mul_f32_e32 v128, v54, v128                              // 00000000B934: 0B010136
	v_mul_f32_e32 v129, v54, v129                              // 00000000B938: 0B030336
	v_mul_f32_e32 v130, v54, v130                              // 00000000B93C: 0B050536
	v_mul_f32_e32 v131, v54, v131                              // 00000000B940: 0B070736
	v_mul_f32_e32 v132, v54, v132                              // 00000000B944: 0B090936
	v_mul_f32_e32 v133, v54, v133                              // 00000000B948: 0B0B0B36
	v_mul_f32_e32 v134, v54, v134                              // 00000000B94C: 0B0D0D36
	v_mul_f32_e32 v135, v54, v135                              // 00000000B950: 0B0F0F36
	v_mul_f32_e32 v136, v54, v136                              // 00000000B954: 0B111136
	v_mul_f32_e32 v137, v54, v137                              // 00000000B958: 0B131336
	v_mul_f32_e32 v138, v54, v138                              // 00000000B95C: 0B151536
	v_mul_f32_e32 v139, v54, v139                              // 00000000B960: 0B171736
	v_mul_f32_e32 v140, v54, v140                              // 00000000B964: 0B191936
	v_mul_f32_e32 v141, v54, v141                              // 00000000B968: 0B1B1B36
	v_mul_f32_e32 v142, v54, v142                              // 00000000B96C: 0B1D1D36
	v_mul_f32_e32 v143, v54, v143                              // 00000000B970: 0B1F1F36
	buffer_load_dwordx4 a[48:51], v31, s[16:19], 0 offen       // 00000000B974: E05C1000 8084301F
	v_mul_f32_dpp v128, v248, v128 quad_perm:[0,0,0,0] row_mask:0xf bank_mask:0xf// 00000000B97C: 0B0100FA FF0000F8
	v_mul_f32_dpp v129, v248, v129 quad_perm:[1,1,1,1] row_mask:0xf bank_mask:0xf// 00000000B984: 0B0302FA FF0055F8
	v_mul_f32_dpp v130, v248, v130 quad_perm:[2,2,2,2] row_mask:0xf bank_mask:0xf// 00000000B98C: 0B0504FA FF00AAF8
	v_mul_f32_dpp v131, v248, v131 quad_perm:[3,3,3,3] row_mask:0xf bank_mask:0xf// 00000000B994: 0B0706FA FF00FFF8
	v_mul_f32_dpp v132, v249, v132 quad_perm:[0,0,0,0] row_mask:0xf bank_mask:0xf// 00000000B99C: 0B0908FA FF0000F9
	v_mul_f32_dpp v133, v249, v133 quad_perm:[1,1,1,1] row_mask:0xf bank_mask:0xf// 00000000B9A4: 0B0B0AFA FF0055F9
	v_mul_f32_dpp v134, v249, v134 quad_perm:[2,2,2,2] row_mask:0xf bank_mask:0xf// 00000000B9AC: 0B0D0CFA FF00AAF9
	v_mul_f32_dpp v135, v249, v135 quad_perm:[3,3,3,3] row_mask:0xf bank_mask:0xf// 00000000B9B4: 0B0F0EFA FF00FFF9
	v_mul_f32_dpp v136, v250, v136 quad_perm:[0,0,0,0] row_mask:0xf bank_mask:0xf// 00000000B9BC: 0B1110FA FF0000FA
	v_mul_f32_dpp v137, v250, v137 quad_perm:[1,1,1,1] row_mask:0xf bank_mask:0xf// 00000000B9C4: 0B1312FA FF0055FA
	v_mul_f32_dpp v138, v250, v138 quad_perm:[2,2,2,2] row_mask:0xf bank_mask:0xf// 00000000B9CC: 0B1514FA FF00AAFA
	v_mul_f32_dpp v139, v250, v139 quad_perm:[3,3,3,3] row_mask:0xf bank_mask:0xf// 00000000B9D4: 0B1716FA FF00FFFA
	v_mul_f32_dpp v140, v251, v140 quad_perm:[0,0,0,0] row_mask:0xf bank_mask:0xf// 00000000B9DC: 0B1918FA FF0000FB
	v_mul_f32_dpp v141, v251, v141 quad_perm:[1,1,1,1] row_mask:0xf bank_mask:0xf// 00000000B9E4: 0B1B1AFA FF0055FB
	v_mul_f32_dpp v142, v251, v142 quad_perm:[2,2,2,2] row_mask:0xf bank_mask:0xf// 00000000B9EC: 0B1D1CFA FF00AAFB
	v_mul_f32_dpp v143, v251, v143 quad_perm:[3,3,3,3] row_mask:0xf bank_mask:0xf// 00000000B9F4: 0B1F1EFA FF00FFFB
	buffer_load_dwordx4 a[52:55], v31, s[16:19], 0 offen offset:1024// 00000000B9FC: E05C1400 8084341F
	s_cmp_le_i32 s90, s89                                      // 00000000BA04: BF05595A
	s_cbranch_scc1 label_2676                                  // 00000000BA08: BF850073
	v_mov_b32_e32 v69, 0xff800000                              // 00000000BA0C: 7E8A02FF FF800000
	s_mov_b32 s60, s90                                         // 00000000BA14: BEBC005A
	s_add_u32 s61, s89, 0xff                                   // 00000000BA18: 803DFF59 000000FF
	v_mov_b32_e32 v41, s61                                     // 00000000BA20: 7E52023D
	v_lshrrev_b32_e32 v240, 4, v0                              // 00000000BA24: 21E00084
	v_mul_i32_i24_e32 v240, 4, v240                            // 00000000BA28: 0DE1E084
	v_add_u32_e32 v240, s60, v240                              // 00000000BA2C: 69E1E03C
	v_and_b32_e32 v42, 15, v0                                  // 00000000BA30: 2654008F
	v_lshrrev_b32_e32 v42, 3, v42                              // 00000000BA34: 20545483
	s_mov_b32 s61, 0                                           // 00000000BA38: BEBD0080
	s_mul_i32 s60, 16, s7                                      // 00000000BA3C: 923C0790
	v_add_u32_e32 v42, s61, v42                                // 00000000BA40: 6854543D
	v_sub_u32_e32 v240, v240, v42                              // 00000000BA44: 6BE055F0
	v_add_u32_e32 v240, s60, v240                              // 00000000BA48: 69E1E03C
	v_add_u32_e32 v241, 1, v240                                // 00000000BA4C: 69E3E081
	v_add_u32_e32 v242, 2, v240                                // 00000000BA50: 69E5E082
	v_add_u32_e32 v243, 3, v240                                // 00000000BA54: 69E7E083
	v_cmp_le_u32_e64 s[40:41], v240, v41                       // 00000000BA58: D0CB0028 000253F0
	v_add_u32_e32 v240, 64, v240                               // 00000000BA60: 69E1E0C0
	s_nop 0                                                    // 00000000BA64: BF800000
	v_cndmask_b32_e64 v128, v69, v128, s[40:41]                // 00000000BA68: D1000080 00A30145
	v_cmp_le_u32_e64 s[40:41], v241, v41                       // 00000000BA70: D0CB0028 000253F1
	v_add_u32_e32 v241, 64, v241                               // 00000000BA78: 69E3E2C0
	s_nop 0                                                    // 00000000BA7C: BF800000
	v_cndmask_b32_e64 v129, v69, v129, s[40:41]                // 00000000BA80: D1000081 00A30345
	v_cmp_le_u32_e64 s[40:41], v242, v41                       // 00000000BA88: D0CB0028 000253F2
	v_add_u32_e32 v242, 64, v242                               // 00000000BA90: 69E5E4C0
	s_nop 0                                                    // 00000000BA94: BF800000
	v_cndmask_b32_e64 v130, v69, v130, s[40:41]                // 00000000BA98: D1000082 00A30545
	v_cmp_le_u32_e64 s[40:41], v243, v41                       // 00000000BAA0: D0CB0028 000253F3
	v_add_u32_e32 v243, 64, v243                               // 00000000BAA8: 69E7E6C0
	s_nop 0                                                    // 00000000BAAC: BF800000
	v_cndmask_b32_e64 v131, v69, v131, s[40:41]                // 00000000BAB0: D1000083 00A30745
	v_cmp_le_u32_e64 s[40:41], v240, v41                       // 00000000BAB8: D0CB0028 000253F0
	v_add_u32_e32 v240, 64, v240                               // 00000000BAC0: 69E1E0C0
	s_nop 0                                                    // 00000000BAC4: BF800000
	v_cndmask_b32_e64 v132, v69, v132, s[40:41]                // 00000000BAC8: D1000084 00A30945
	v_cmp_le_u32_e64 s[40:41], v241, v41                       // 00000000BAD0: D0CB0028 000253F1
	v_add_u32_e32 v241, 64, v241                               // 00000000BAD8: 69E3E2C0
	s_nop 0                                                    // 00000000BADC: BF800000
	v_cndmask_b32_e64 v133, v69, v133, s[40:41]                // 00000000BAE0: D1000085 00A30B45
	v_cmp_le_u32_e64 s[40:41], v242, v41                       // 00000000BAE8: D0CB0028 000253F2
	v_add_u32_e32 v242, 64, v242                               // 00000000BAF0: 69E5E4C0
	s_nop 0                                                    // 00000000BAF4: BF800000
	v_cndmask_b32_e64 v134, v69, v134, s[40:41]                // 00000000BAF8: D1000086 00A30D45
	v_cmp_le_u32_e64 s[40:41], v243, v41                       // 00000000BB00: D0CB0028 000253F3
	v_add_u32_e32 v243, 64, v243                               // 00000000BB08: 69E7E6C0
	s_nop 0                                                    // 00000000BB0C: BF800000
	v_cndmask_b32_e64 v135, v69, v135, s[40:41]                // 00000000BB10: D1000087 00A30F45
	v_cmp_le_u32_e64 s[40:41], v240, v41                       // 00000000BB18: D0CB0028 000253F0
	v_add_u32_e32 v240, 64, v240                               // 00000000BB20: 69E1E0C0
	s_nop 0                                                    // 00000000BB24: BF800000
	v_cndmask_b32_e64 v136, v69, v136, s[40:41]                // 00000000BB28: D1000088 00A31145
	v_cmp_le_u32_e64 s[40:41], v241, v41                       // 00000000BB30: D0CB0028 000253F1
	v_add_u32_e32 v241, 64, v241                               // 00000000BB38: 69E3E2C0
	s_nop 0                                                    // 00000000BB3C: BF800000
	v_cndmask_b32_e64 v137, v69, v137, s[40:41]                // 00000000BB40: D1000089 00A31345
	v_cmp_le_u32_e64 s[40:41], v242, v41                       // 00000000BB48: D0CB0028 000253F2
	v_add_u32_e32 v242, 64, v242                               // 00000000BB50: 69E5E4C0
	s_nop 0                                                    // 00000000BB54: BF800000
	v_cndmask_b32_e64 v138, v69, v138, s[40:41]                // 00000000BB58: D100008A 00A31545
	v_cmp_le_u32_e64 s[40:41], v243, v41                       // 00000000BB60: D0CB0028 000253F3
	v_add_u32_e32 v243, 64, v243                               // 00000000BB68: 69E7E6C0
	s_nop 0                                                    // 00000000BB6C: BF800000
	v_cndmask_b32_e64 v139, v69, v139, s[40:41]                // 00000000BB70: D100008B 00A31745
	v_cmp_le_u32_e64 s[40:41], v240, v41                       // 00000000BB78: D0CB0028 000253F0
	v_add_u32_e32 v240, 64, v240                               // 00000000BB80: 69E1E0C0
	s_nop 0                                                    // 00000000BB84: BF800000
	v_cndmask_b32_e64 v140, v69, v140, s[40:41]                // 00000000BB88: D100008C 00A31945
	v_cmp_le_u32_e64 s[40:41], v241, v41                       // 00000000BB90: D0CB0028 000253F1
	v_add_u32_e32 v241, 64, v241                               // 00000000BB98: 69E3E2C0
	s_nop 0                                                    // 00000000BB9C: BF800000
	v_cndmask_b32_e64 v141, v69, v141, s[40:41]                // 00000000BBA0: D100008D 00A31B45
	v_cmp_le_u32_e64 s[40:41], v242, v41                       // 00000000BBA8: D0CB0028 000253F2
	v_add_u32_e32 v242, 64, v242                               // 00000000BBB0: 69E5E4C0
	s_nop 0                                                    // 00000000BBB4: BF800000
	v_cndmask_b32_e64 v142, v69, v142, s[40:41]                // 00000000BBB8: D100008E 00A31D45
	v_cmp_le_u32_e64 s[40:41], v243, v41                       // 00000000BBC0: D0CB0028 000253F3
	v_add_u32_e32 v243, 64, v243                               // 00000000BBC8: 69E7E6C0
	s_nop 0                                                    // 00000000BBCC: BF800000
	v_cndmask_b32_e64 v143, v69, v143, s[40:41]                // 00000000BBD0: D100008F 00A31F45

000000000000bbd8 <label_2676>:
	v_mov_b32_e32 v62, v128                                    // 00000000BBD8: 7E7C0380
	v_max3_f32 v62, v128, v129, v62                            // 00000000BBDC: D1D3003E 04FB0380
	v_max3_f32 v62, v130, v131, v62                            // 00000000BBE4: D1D3003E 04FB0782
	v_max3_f32 v62, v132, v133, v62                            // 00000000BBEC: D1D3003E 04FB0B84
	v_max3_f32 v62, v134, v135, v62                            // 00000000BBF4: D1D3003E 04FB0F86
	v_max3_f32 v62, v136, v137, v62                            // 00000000BBFC: D1D3003E 04FB1388
	v_max3_f32 v62, v138, v139, v62                            // 00000000BC04: D1D3003E 04FB178A
	v_max3_f32 v62, v140, v141, v62                            // 00000000BC0C: D1D3003E 04FB1B8C
	v_max3_f32 v62, v142, v143, v62                            // 00000000BC14: D1D3003E 04FB1F8E
	ds_write_b32 v11, v62 offset:16896                         // 00000000BC1C: D81A4200 00003E0B
	buffer_load_dwordx4 a[56:59], v32, s[16:19], 0 offen       // 00000000BC24: E05C1000 80843820
	v_mul_u32_u24_dpp v41, v20, v68 row_newbcast:1 row_mask:0xf bank_mask:0xf// 00000000BC2C: 105288FA FF015114
	v_mul_u32_u24_dpp v42, v20, v68 row_newbcast:5 row_mask:0xf bank_mask:0xf// 00000000BC34: 105488FA FF015514
	v_mul_u32_u24_dpp v43, v20, v68 row_newbcast:9 row_mask:0xf bank_mask:0xf// 00000000BC3C: 105688FA FF015914
	v_mul_u32_u24_dpp v44, v20, v68 row_newbcast:13 row_mask:0xf bank_mask:0xf// 00000000BC44: 105888FA FF015D14
	v_add_u32_e32 v37, v41, v7                                 // 00000000BC4C: 684A0F29
	v_add_u32_e32 v38, v42, v7                                 // 00000000BC50: 684C0F2A
	v_add_u32_e32 v39, v43, v7                                 // 00000000BC54: 684E0F2B
	v_add_u32_e32 v40, v44, v7                                 // 00000000BC58: 68500F2C
	v_mul_f32_e32 v224, v63, v224                              // 00000000BC5C: 0BC1C13F
	v_mul_f32_e32 v225, v63, v225                              // 00000000BC60: 0BC3C33F
	v_mul_f32_e32 v226, v63, v226                              // 00000000BC64: 0BC5C53F
	v_mul_f32_e32 v227, v63, v227                              // 00000000BC68: 0BC7C73F
	v_mul_f32_e32 v228, v63, v228                              // 00000000BC6C: 0BC9C93F
	v_mul_f32_e32 v229, v63, v229                              // 00000000BC70: 0BCBCB3F
	v_mul_f32_e32 v230, v63, v230                              // 00000000BC74: 0BCDCD3F
	v_mul_f32_e32 v231, v63, v231                              // 00000000BC78: 0BCFCF3F
	s_waitcnt lgkmcnt(0)                                       // 00000000BC7C: BF8CC07F
	s_barrier                                                  // 00000000BC80: BF8A0000
	ds_read_b32 v80, v10 offset:16896                          // 00000000BC84: D86C4200 5000000A
	ds_read_b32 v81, v10 offset:16960                          // 00000000BC8C: D86C4240 5100000A
	ds_read_b32 v82, v10 offset:17024                          // 00000000BC94: D86C4280 5200000A
	ds_read_b32 v83, v10 offset:17088                          // 00000000BC9C: D86C42C0 5300000A
	ds_read_b32 v84, v10 offset:17152                          // 00000000BCA4: D86C4300 5400000A
	ds_read_b32 v85, v10 offset:17216                          // 00000000BCAC: D86C4340 5500000A
	ds_read_b32 v86, v10 offset:17280                          // 00000000BCB4: D86C4380 5600000A
	ds_read_b32 v87, v10 offset:17344                          // 00000000BCBC: D86C43C0 5700000A
	ds_read_b32 v88, v10 offset:17408                          // 00000000BCC4: D86C4400 5800000A
	ds_read_b32 v89, v10 offset:17472                          // 00000000BCCC: D86C4440 5900000A
	ds_read_b32 v90, v10 offset:17536                          // 00000000BCD4: D86C4480 5A00000A
	ds_read_b32 v91, v10 offset:17600                          // 00000000BCDC: D86C44C0 5B00000A
	ds_read_b32 v92, v10 offset:17664                          // 00000000BCE4: D86C4500 5C00000A
	ds_read_b32 v93, v10 offset:17728                          // 00000000BCEC: D86C4540 5D00000A
	ds_read_b32 v94, v10 offset:17792                          // 00000000BCF4: D86C4580 5E00000A
	ds_read_b32 v95, v10 offset:17856                          // 00000000BCFC: D86C45C0 5F00000A
	buffer_load_dwordx4 a[60:63], v32, s[16:19], 0 offen offset:1024// 00000000BD04: E05C1400 80843C20
	v_cvt_f32_i32_e32 v192, v192                               // 00000000BD0C: 7F800BC0
	v_cvt_f32_i32_e32 v193, v193                               // 00000000BD10: 7F820BC1
	v_cvt_f32_i32_e32 v194, v194                               // 00000000BD14: 7F840BC2
	v_cvt_f32_i32_e32 v195, v195                               // 00000000BD18: 7F860BC3
	v_cvt_f32_i32_e32 v196, v196                               // 00000000BD1C: 7F880BC4
	v_cvt_f32_i32_e32 v197, v197                               // 00000000BD20: 7F8A0BC5
	v_cvt_f32_i32_e32 v198, v198                               // 00000000BD24: 7F8C0BC6
	v_cvt_f32_i32_e32 v199, v199                               // 00000000BD28: 7F8E0BC7
	v_mul_f32_e32 v192, v58, v192                              // 00000000BD2C: 0B81813A
	v_mul_f32_e32 v193, v58, v193                              // 00000000BD30: 0B83833A
	v_mul_f32_e32 v194, v58, v194                              // 00000000BD34: 0B85853A
	v_mul_f32_e32 v195, v58, v195                              // 00000000BD38: 0B87873A
	v_mul_f32_e32 v196, v58, v196                              // 00000000BD3C: 0B89893A
	v_mul_f32_e32 v197, v58, v197                              // 00000000BD40: 0B8B8B3A
	v_mul_f32_e32 v198, v58, v198                              // 00000000BD44: 0B8D8D3A
	v_mul_f32_e32 v199, v58, v199                              // 00000000BD48: 0B8F8F3A
	s_waitcnt lgkmcnt(0)                                       // 00000000BD4C: BF8CC07F
	v_max3_f32 v62, v80, v81, v62                              // 00000000BD50: D1D3003E 04FAA350
	v_max3_f32 v62, v82, v83, v62                              // 00000000BD58: D1D3003E 04FAA752
	v_max3_f32 v62, v84, v85, v62                              // 00000000BD60: D1D3003E 04FAAB54
	v_max3_f32 v62, v86, v87, v62                              // 00000000BD68: D1D3003E 04FAAF56
	v_max3_f32 v62, v88, v89, v62                              // 00000000BD70: D1D3003E 04FAB358
	v_max3_f32 v62, v90, v91, v62                              // 00000000BD78: D1D3003E 04FAB75A
	v_max3_f32 v62, v92, v93, v62                              // 00000000BD80: D1D3003E 04FABB5C
	v_max3_f32 v62, v94, v95, v62                              // 00000000BD88: D1D3003E 04FABF5E
	buffer_load_dwordx4 a[96:99], v37, s[20:23], 0 offen       // 00000000BD90: E05C1000 80856025
	v_mov_b32_e32 v41, 0xff800000                              // 00000000BD98: 7E5202FF FF800000
	v_cmp_eq_u32_e64 s[40:41], v41, v14                        // 00000000BDA0: D0CA0028 00021D29
	s_nop 1                                                    // 00000000BDA8: BF800001
	v_max_f32_e32 v18, v62, v14                                // 00000000BDAC: 16241D3E
	v_mul_f32_e32 v67, s64, v18                                // 00000000BDB0: 0A862440
	v_fma_f32 v128, v128, s64, -v67                            // 00000000BDB4: D1CB0080 850C8180
	v_fma_f32 v129, v129, s64, -v67                            // 00000000BDBC: D1CB0081 850C8181
	v_fma_f32 v130, v130, s64, -v67                            // 00000000BDC4: D1CB0082 850C8182
	v_fma_f32 v131, v131, s64, -v67                            // 00000000BDCC: D1CB0083 850C8183
	v_fma_f32 v132, v132, s64, -v67                            // 00000000BDD4: D1CB0084 850C8184
	v_fma_f32 v133, v133, s64, -v67                            // 00000000BDDC: D1CB0085 850C8185
	v_fma_f32 v134, v134, s64, -v67                            // 00000000BDE4: D1CB0086 850C8186
	v_fma_f32 v135, v135, s64, -v67                            // 00000000BDEC: D1CB0087 850C8187
	v_fma_f32 v136, v136, s64, -v67                            // 00000000BDF4: D1CB0088 850C8188
	v_fma_f32 v137, v137, s64, -v67                            // 00000000BDFC: D1CB0089 850C8189
	v_fma_f32 v138, v138, s64, -v67                            // 00000000BE04: D1CB008A 850C818A
	v_fma_f32 v139, v139, s64, -v67                            // 00000000BE0C: D1CB008B 850C818B
	v_fma_f32 v140, v140, s64, -v67                            // 00000000BE14: D1CB008C 850C818C
	v_fma_f32 v141, v141, s64, -v67                            // 00000000BE1C: D1CB008D 850C818D
	v_fma_f32 v142, v142, s64, -v67                            // 00000000BE24: D1CB008E 850C818E
	v_fma_f32 v143, v143, s64, -v67                            // 00000000BE2C: D1CB008F 850C818F
	buffer_load_dwordx4 a[100:103], v38, s[20:23], 0 offen     // 00000000BE34: E05C1000 80856426
	v_exp_f32_e32 v128, v128                                   // 00000000BE3C: 7F004180
	v_exp_f32_e32 v129, v129                                   // 00000000BE40: 7F024181
	v_exp_f32_e32 v130, v130                                   // 00000000BE44: 7F044182
	v_exp_f32_e32 v131, v131                                   // 00000000BE48: 7F064183
	v_exp_f32_e32 v132, v132                                   // 00000000BE4C: 7F084184
	v_exp_f32_e32 v133, v133                                   // 00000000BE50: 7F0A4185
	v_exp_f32_e32 v134, v134                                   // 00000000BE54: 7F0C4186
	v_exp_f32_e32 v135, v135                                   // 00000000BE58: 7F0E4187
	v_exp_f32_e32 v136, v136                                   // 00000000BE5C: 7F104188
	v_exp_f32_e32 v137, v137                                   // 00000000BE60: 7F124189
	v_exp_f32_e32 v138, v138                                   // 00000000BE64: 7F14418A
	v_exp_f32_e32 v139, v139                                   // 00000000BE68: 7F16418B
	v_exp_f32_e32 v140, v140                                   // 00000000BE6C: 7F18418C
	v_exp_f32_e32 v141, v141                                   // 00000000BE70: 7F1A418D
	v_exp_f32_e32 v142, v142                                   // 00000000BE74: 7F1C418E
	v_exp_f32_e32 v143, v143                                   // 00000000BE78: 7F1E418F
	buffer_load_dwordx4 a[104:107], v39, s[20:23], 0 offen     // 00000000BE7C: E05C1000 80856827
	v_mul_f32_dpp v240, v252, v128 quad_perm:[0,0,0,0] row_mask:0xf bank_mask:0xf// 00000000BE84: 0BE100FA FF0000FC
	v_mul_f32_dpp v241, v252, v129 quad_perm:[1,1,1,1] row_mask:0xf bank_mask:0xf// 00000000BE8C: 0BE302FA FF0055FC
	v_mul_f32_dpp v242, v252, v130 quad_perm:[2,2,2,2] row_mask:0xf bank_mask:0xf// 00000000BE94: 0BE504FA FF00AAFC
	v_mul_f32_dpp v243, v252, v131 quad_perm:[3,3,3,3] row_mask:0xf bank_mask:0xf// 00000000BE9C: 0BE706FA FF00FFFC
	v_mul_f32_dpp v244, v253, v132 quad_perm:[0,0,0,0] row_mask:0xf bank_mask:0xf// 00000000BEA4: 0BE908FA FF0000FD
	v_mul_f32_dpp v245, v253, v133 quad_perm:[1,1,1,1] row_mask:0xf bank_mask:0xf// 00000000BEAC: 0BEB0AFA FF0055FD
	v_mul_f32_dpp v246, v253, v134 quad_perm:[2,2,2,2] row_mask:0xf bank_mask:0xf// 00000000BEB4: 0BED0CFA FF00AAFD
	v_mul_f32_dpp v247, v253, v135 quad_perm:[3,3,3,3] row_mask:0xf bank_mask:0xf// 00000000BEBC: 0BEF0EFA FF00FFFD
	v_mul_f32_dpp v248, v254, v136 quad_perm:[0,0,0,0] row_mask:0xf bank_mask:0xf// 00000000BEC4: 0BF110FA FF0000FE
	v_mul_f32_dpp v249, v254, v137 quad_perm:[1,1,1,1] row_mask:0xf bank_mask:0xf// 00000000BECC: 0BF312FA FF0055FE
	v_mul_f32_dpp v250, v254, v138 quad_perm:[2,2,2,2] row_mask:0xf bank_mask:0xf// 00000000BED4: 0BF514FA FF00AAFE
	v_mul_f32_dpp v251, v254, v139 quad_perm:[3,3,3,3] row_mask:0xf bank_mask:0xf// 00000000BEDC: 0BF716FA FF00FFFE
	v_mul_f32_dpp v252, v255, v140 quad_perm:[0,0,0,0] row_mask:0xf bank_mask:0xf// 00000000BEE4: 0BF918FA FF0000FF
	v_mul_f32_dpp v253, v255, v141 quad_perm:[1,1,1,1] row_mask:0xf bank_mask:0xf// 00000000BEEC: 0BFB1AFA FF0055FF
	v_mul_f32_dpp v254, v255, v142 quad_perm:[2,2,2,2] row_mask:0xf bank_mask:0xf// 00000000BEF4: 0BFD1CFA FF00AAFF
	v_mul_f32_dpp v255, v255, v143 quad_perm:[3,3,3,3] row_mask:0xf bank_mask:0xf// 00000000BEFC: 0BFF1EFA FF00FFFF
	v_mov_b32_e32 v62, 0x358637bd                              // 00000000BF04: 7E7C02FF 358637BD
	v_max3_f32 v62, |v240|, |v241|, v62                        // 00000000BF0C: D1D3033E 04FBE3F0
	v_max3_f32 v62, |v242|, |v243|, v62                        // 00000000BF14: D1D3033E 04FBE7F2
	v_max3_f32 v62, |v244|, |v245|, v62                        // 00000000BF1C: D1D3033E 04FBEBF4
	v_max3_f32 v62, |v246|, |v247|, v62                        // 00000000BF24: D1D3033E 04FBEFF6
	v_max3_f32 v62, |v248|, |v249|, v62                        // 00000000BF2C: D1D3033E 04FBF3F8
	v_max3_f32 v62, |v250|, |v251|, v62                        // 00000000BF34: D1D3033E 04FBF7FA
	v_max3_f32 v62, |v252|, |v253|, v62                        // 00000000BF3C: D1D3033E 04FBFBFC
	v_max3_f32 v62, |v254|, |v255|, v62                        // 00000000BF44: D1D3033E 04FBFFFE
	buffer_load_dwordx4 a[108:111], v40, s[20:23], 0 offen     // 00000000BF4C: E05C1000 80856C28
	ds_write_b32 v11, v62 offset:20992                         // 00000000BF54: D81A5200 00003E0B
	v_sub_f32_e32 v63, v14, v18                                // 00000000BF5C: 047E250E
	v_cndmask_b32_e64 v63, v63, 0, s[40:41]                    // 00000000BF60: D100003F 00A1013F
	v_mov_b32_e32 v14, v18                                     // 00000000BF68: 7E1C0312
	v_mul_f32_e32 v63, s64, v63                                // 00000000BF6C: 0A7E7E40
	v_exp_f32_e32 v63, v63                                     // 00000000BF70: 7E7E413F
	s_waitcnt lgkmcnt(0)                                       // 00000000BF74: BF8CC07F
	s_barrier                                                  // 00000000BF78: BF8A0000
	ds_read_b32 v80, v10 offset:20992                          // 00000000BF7C: D86C5200 5000000A
	ds_read_b32 v81, v10 offset:21056                          // 00000000BF84: D86C5240 5100000A
	ds_read_b32 v82, v10 offset:21120                          // 00000000BF8C: D86C5280 5200000A
	ds_read_b32 v83, v10 offset:21184                          // 00000000BF94: D86C52C0 5300000A
	ds_read_b32 v84, v10 offset:21248                          // 00000000BF9C: D86C5300 5400000A
	ds_read_b32 v85, v10 offset:21312                          // 00000000BFA4: D86C5340 5500000A
	ds_read_b32 v86, v10 offset:21376                          // 00000000BFAC: D86C5380 5600000A
	ds_read_b32 v87, v10 offset:21440                          // 00000000BFB4: D86C53C0 5700000A
	ds_read_b32 v88, v10 offset:21504                          // 00000000BFBC: D86C5400 5800000A
	ds_read_b32 v89, v10 offset:21568                          // 00000000BFC4: D86C5440 5900000A
	ds_read_b32 v90, v10 offset:21632                          // 00000000BFCC: D86C5480 5A00000A
	ds_read_b32 v91, v10 offset:21696                          // 00000000BFD4: D86C54C0 5B00000A
	ds_read_b32 v92, v10 offset:21760                          // 00000000BFDC: D86C5500 5C00000A
	ds_read_b32 v93, v10 offset:21824                          // 00000000BFE4: D86C5540 5D00000A
	ds_read_b32 v94, v10 offset:21888                          // 00000000BFEC: D86C5580 5E00000A
	ds_read_b32 v95, v10 offset:21952                          // 00000000BFF4: D86C55C0 5F00000A
	v_mul_f32_e32 v47, v63, v47                                // 00000000BFFC: 0A5E5F3F
	v_mov_b32_e32 v18, v128                                    // 00000000C000: 7E240380
	v_add_f32_e32 v18, v129, v18                               // 00000000C004: 02242581
	v_add_f32_e32 v18, v130, v18                               // 00000000C008: 02242582
	v_add_f32_e32 v18, v131, v18                               // 00000000C00C: 02242583
	v_add_f32_e32 v18, v132, v18                               // 00000000C010: 02242584
	v_add_f32_e32 v18, v133, v18                               // 00000000C014: 02242585
	v_add_f32_e32 v18, v134, v18                               // 00000000C018: 02242586
	v_add_f32_e32 v18, v135, v18                               // 00000000C01C: 02242587
	v_add_f32_e32 v18, v136, v18                               // 00000000C020: 02242588
	v_add_f32_e32 v18, v137, v18                               // 00000000C024: 02242589
	v_add_f32_e32 v18, v138, v18                               // 00000000C028: 0224258A
	v_add_f32_e32 v18, v139, v18                               // 00000000C02C: 0224258B
	v_add_f32_e32 v18, v140, v18                               // 00000000C030: 0224258C
	v_add_f32_e32 v18, v141, v18                               // 00000000C034: 0224258D
	v_add_f32_e32 v18, v142, v18                               // 00000000C038: 0224258E
	v_add_f32_e32 v18, v143, v18                               // 00000000C03C: 0224258F
	v_add_f32_e32 v47, v18, v47                                // 00000000C040: 025E5F12
	s_waitcnt lgkmcnt(0)                                       // 00000000C044: BF8CC07F
	v_max3_f32 v62, |v80|, |v81|, v62                          // 00000000C048: D1D3033E 04FAA350
	v_max3_f32 v62, |v82|, |v83|, v62                          // 00000000C050: D1D3033E 04FAA752
	v_max3_f32 v62, |v84|, |v85|, v62                          // 00000000C058: D1D3033E 04FAAB54
	v_max3_f32 v62, |v86|, |v87|, v62                          // 00000000C060: D1D3033E 04FAAF56
	v_max3_f32 v62, |v88|, |v89|, v62                          // 00000000C068: D1D3033E 04FAB358
	v_max3_f32 v62, |v90|, |v91|, v62                          // 00000000C070: D1D3033E 04FAB75A
	v_max3_f32 v62, |v92|, |v93|, v62                          // 00000000C078: D1D3033E 04FABB5C
	v_max3_f32 v62, |v94|, |v95|, v62                          // 00000000C080: D1D3033E 04FABF5E
	s_nop 2                                                    // 00000000C088: BF800002
	v_rcp_f32_e32 v62, v62                                     // 00000000C08C: 7E7C453E
	s_nop 1                                                    // 00000000C090: BF800001
	v_mul_f32_e32 v62, 0x42fe0000, v62                         // 00000000C094: 0A7C7CFF 42FE0000
	v_mul_f32_e32 v128, v62, v240                              // 00000000C09C: 0B01E13E
	v_mul_f32_e32 v129, v62, v241                              // 00000000C0A0: 0B03E33E
	v_mul_f32_e32 v130, v62, v242                              // 00000000C0A4: 0B05E53E
	v_mul_f32_e32 v131, v62, v243                              // 00000000C0A8: 0B07E73E
	v_mul_f32_e32 v132, v62, v244                              // 00000000C0AC: 0B09E93E
	v_mul_f32_e32 v133, v62, v245                              // 00000000C0B0: 0B0BEB3E
	v_mul_f32_e32 v134, v62, v246                              // 00000000C0B4: 0B0DED3E
	v_mul_f32_e32 v135, v62, v247                              // 00000000C0B8: 0B0FEF3E
	v_mul_f32_e32 v136, v62, v248                              // 00000000C0BC: 0B11F13E
	v_mul_f32_e32 v137, v62, v249                              // 00000000C0C0: 0B13F33E
	v_mul_f32_e32 v138, v62, v250                              // 00000000C0C4: 0B15F53E
	v_mul_f32_e32 v139, v62, v251                              // 00000000C0C8: 0B17F73E
	v_mul_f32_e32 v140, v62, v252                              // 00000000C0CC: 0B19F93E
	v_mul_f32_e32 v141, v62, v253                              // 00000000C0D0: 0B1BFB3E
	v_mul_f32_e32 v142, v62, v254                              // 00000000C0D4: 0B1DFD3E
	v_mul_f32_e32 v143, v62, v255                              // 00000000C0D8: 0B1FFF3E
	v_cvt_i32_f32_e32 v128, v128                               // 00000000C0DC: 7F001180
	v_cvt_i32_f32_e32 v129, v129                               // 00000000C0E0: 7F021181
	v_cvt_i32_f32_e32 v130, v130                               // 00000000C0E4: 7F041182
	v_cvt_i32_f32_e32 v131, v131                               // 00000000C0E8: 7F061183
	v_cvt_i32_f32_e32 v132, v132                               // 00000000C0EC: 7F081184
	v_cvt_i32_f32_e32 v133, v133                               // 00000000C0F0: 7F0A1185
	v_cvt_i32_f32_e32 v134, v134                               // 00000000C0F4: 7F0C1186
	v_cvt_i32_f32_e32 v135, v135                               // 00000000C0F8: 7F0E1187
	v_cvt_i32_f32_e32 v136, v136                               // 00000000C0FC: 7F101188
	v_cvt_i32_f32_e32 v137, v137                               // 00000000C100: 7F121189
	v_cvt_i32_f32_e32 v138, v138                               // 00000000C104: 7F14118A
	v_cvt_i32_f32_e32 v139, v139                               // 00000000C108: 7F16118B
	v_cvt_i32_f32_e32 v140, v140                               // 00000000C10C: 7F18118C
	v_cvt_i32_f32_e32 v141, v141                               // 00000000C110: 7F1A118D
	v_cvt_i32_f32_e32 v142, v142                               // 00000000C114: 7F1C118E
	v_cvt_i32_f32_e32 v143, v143                               // 00000000C118: 7F1E118F
	v_perm_b32 v128, v129, v128, s53                           // 00000000C11C: D1ED0080 00D70181
	v_perm_b32 v128, v130, v128, s54                           // 00000000C124: D1ED0080 00DB0182
	v_perm_b32 v128, v131, v128, s55                           // 00000000C12C: D1ED0080 00DF0183
	v_perm_b32 v129, v133, v132, s53                           // 00000000C134: D1ED0081 00D70985
	v_perm_b32 v129, v134, v129, s54                           // 00000000C13C: D1ED0081 00DB0386
	v_perm_b32 v129, v135, v129, s55                           // 00000000C144: D1ED0081 00DF0387
	v_perm_b32 v130, v137, v136, s53                           // 00000000C14C: D1ED0082 00D71189
	v_perm_b32 v130, v138, v130, s54                           // 00000000C154: D1ED0082 00DB058A
	v_perm_b32 v130, v139, v130, s55                           // 00000000C15C: D1ED0082 00DF058B
	v_perm_b32 v131, v141, v140, s53                           // 00000000C164: D1ED0083 00D7198D
	v_perm_b32 v131, v142, v131, s54                           // 00000000C16C: D1ED0083 00DB078E
	v_perm_b32 v131, v143, v131, s55                           // 00000000C174: D1ED0083 00DF078F
	ds_write_b32 v13, v128 offset:25088                        // 00000000C17C: D81A6200 0000800D
	ds_write_b32 v13, v129 offset:26112                        // 00000000C184: D81A6600 0000810D
	ds_write_b32 v13, v130 offset:27136                        // 00000000C18C: D81A6A00 0000820D
	ds_write_b32 v13, v131 offset:28160                        // 00000000C194: D81A6E00 0000830D
	v_add_f32_e32 v224, v224, v192                             // 00000000C19C: 03C181E0
	v_add_f32_e32 v225, v225, v193                             // 00000000C1A0: 03C383E1
	v_add_f32_e32 v226, v226, v194                             // 00000000C1A4: 03C585E2
	v_add_f32_e32 v227, v227, v195                             // 00000000C1A8: 03C787E3
	v_add_f32_e32 v228, v228, v196                             // 00000000C1AC: 03C989E4
	v_add_f32_e32 v229, v229, v197                             // 00000000C1B0: 03CB8BE5
	v_add_f32_e32 v230, v230, v198                             // 00000000C1B4: 03CD8DE6
	v_add_f32_e32 v231, v231, v199                             // 00000000C1B8: 03CF8FE7
	v_rcp_f32_e32 v58, v62                                     // 00000000C1BC: 7E74453E
	s_waitcnt lgkmcnt(0)                                       // 00000000C1C0: BF8CC07F
	s_barrier                                                  // 00000000C1C4: BF8A0000
	ds_read_b64 v[128:129], v12 offset:25088                   // 00000000C1C8: D8EC6200 8000000C
	ds_read_b64 v[130:131], v12 offset:25216                   // 00000000C1D0: D8EC6280 8200000C
	ds_read_b64 v[132:133], v12 offset:26112                   // 00000000C1D8: D8EC6600 8400000C
	ds_read_b64 v[134:135], v12 offset:26240                   // 00000000C1E0: D8EC6680 8600000C
	ds_read_b64 v[136:137], v12 offset:27136                   // 00000000C1E8: D8EC6A00 8800000C
	ds_read_b64 v[138:139], v12 offset:27264                   // 00000000C1F0: D8EC6A80 8A00000C
	ds_read_b64 v[140:141], v12 offset:28160                   // 00000000C1F8: D8EC6E00 8C00000C
	ds_read_b64 v[142:143], v12 offset:28288                   // 00000000C200: D8EC6E80 8E00000C
	v_mov_b32_dpp v41, v52 row_shr:4 row_mask:0xf bank_mask:0xf// 00000000C208: 7E5202FA FF011434
	v_mov_b32_dpp v42, v52 row_shl:4 row_mask:0xf bank_mask:0xf// 00000000C210: 7E5402FA FF010434
	v_cndmask_b32_e64 v248, v52, v41, s[44:45]                 // 00000000C218: D10000F8 00B25334
	v_cndmask_b32_e64 v249, v42, v52, s[44:45]                 // 00000000C220: D10000F9 00B2692A
	v_mov_b32_dpp v41, v248 row_shr:8 row_mask:0xf bank_mask:0xf// 00000000C228: 7E5202FA FF0118F8
	v_mov_b32_dpp v42, v248 row_shl:8 row_mask:0xf bank_mask:0xf// 00000000C230: 7E5402FA FF0108F8
	v_mov_b32_dpp v43, v249 row_shr:8 row_mask:0xf bank_mask:0xf// 00000000C238: 7E5602FA FF0118F9
	v_mov_b32_dpp v44, v249 row_shl:8 row_mask:0xf bank_mask:0xf// 00000000C240: 7E5802FA FF0108F9
	v_mov_b32_e32 v45, v248                                    // 00000000C248: 7E5A03F8
	v_mov_b32_e32 v46, v249                                    // 00000000C24C: 7E5C03F9
	v_cndmask_b32_e64 v248, v45, v41, s[42:43]                 // 00000000C250: D10000F8 00AA532D
	v_cndmask_b32_e64 v250, v45, v42, s[78:79]                 // 00000000C258: D10000FA 013A552D
	v_cndmask_b32_e64 v249, v46, v43, s[42:43]                 // 00000000C260: D10000F9 00AA572E
	v_cndmask_b32_e64 v251, v46, v44, s[78:79]                 // 00000000C268: D10000FB 013A592E
	v_mov_b32_dpp v41, v72 row_shr:4 row_mask:0xf bank_mask:0xf// 00000000C270: 7E5202FA FF011448
	v_mov_b32_dpp v42, v72 row_shl:4 row_mask:0xf bank_mask:0xf// 00000000C278: 7E5402FA FF010448
	v_cndmask_b32_e64 v252, v72, v41, s[44:45]                 // 00000000C280: D10000FC 00B25348
	v_cndmask_b32_e64 v253, v42, v72, s[44:45]                 // 00000000C288: D10000FD 00B2912A
	v_mov_b32_dpp v41, v252 row_shr:8 row_mask:0xf bank_mask:0xf// 00000000C290: 7E5202FA FF0118FC
	v_mov_b32_dpp v42, v252 row_shl:8 row_mask:0xf bank_mask:0xf// 00000000C298: 7E5402FA FF0108FC
	v_mov_b32_dpp v43, v253 row_shr:8 row_mask:0xf bank_mask:0xf// 00000000C2A0: 7E5602FA FF0118FD
	v_mov_b32_dpp v44, v253 row_shl:8 row_mask:0xf bank_mask:0xf// 00000000C2A8: 7E5802FA FF0108FD
	v_mov_b32_e32 v45, v252                                    // 00000000C2B0: 7E5A03FC
	v_mov_b32_e32 v46, v253                                    // 00000000C2B4: 7E5C03FD
	v_cndmask_b32_e64 v252, v45, v41, s[42:43]                 // 00000000C2B8: D10000FC 00AA532D
	v_cndmask_b32_e64 v254, v45, v42, s[78:79]                 // 00000000C2C0: D10000FE 013A552D
	v_cndmask_b32_e64 v253, v46, v43, s[42:43]                 // 00000000C2C8: D10000FD 00AA572E
	v_cndmask_b32_e64 v255, v46, v44, s[78:79]                 // 00000000C2D0: D10000FF 013A592E
	v_cvt_f32_i32_e32 v144, v144                               // 00000000C2D8: 7F200B90
	v_cvt_f32_i32_e32 v145, v145                               // 00000000C2DC: 7F220B91
	v_cvt_f32_i32_e32 v146, v146                               // 00000000C2E0: 7F240B92
	v_cvt_f32_i32_e32 v147, v147                               // 00000000C2E4: 7F260B93
	v_cvt_f32_i32_e32 v148, v148                               // 00000000C2E8: 7F280B94
	v_cvt_f32_i32_e32 v149, v149                               // 00000000C2EC: 7F2A0B95
	v_cvt_f32_i32_e32 v150, v150                               // 00000000C2F0: 7F2C0B96
	v_cvt_f32_i32_e32 v151, v151                               // 00000000C2F4: 7F2E0B97
	v_cvt_f32_i32_e32 v152, v152                               // 00000000C2F8: 7F300B98
	v_cvt_f32_i32_e32 v153, v153                               // 00000000C2FC: 7F320B99
	v_cvt_f32_i32_e32 v154, v154                               // 00000000C300: 7F340B9A
	v_cvt_f32_i32_e32 v155, v155                               // 00000000C304: 7F360B9B
	v_cvt_f32_i32_e32 v156, v156                               // 00000000C308: 7F380B9C
	v_cvt_f32_i32_e32 v157, v157                               // 00000000C30C: 7F3A0B9D
	v_cvt_f32_i32_e32 v158, v158                               // 00000000C310: 7F3C0B9E
	v_cvt_f32_i32_e32 v159, v159                               // 00000000C314: 7F3E0B9F
	v_mul_f32_e32 v144, v55, v144                              // 00000000C318: 0B212137
	v_mul_f32_e32 v145, v55, v145                              // 00000000C31C: 0B232337
	v_mul_f32_e32 v146, v55, v146                              // 00000000C320: 0B252537
	v_mul_f32_e32 v147, v55, v147                              // 00000000C324: 0B272737
	v_mul_f32_e32 v148, v55, v148                              // 00000000C328: 0B292937
	v_mul_f32_e32 v149, v55, v149                              // 00000000C32C: 0B2B2B37
	v_mul_f32_e32 v150, v55, v150                              // 00000000C330: 0B2D2D37
	v_mul_f32_e32 v151, v55, v151                              // 00000000C334: 0B2F2F37
	v_mul_f32_e32 v152, v55, v152                              // 00000000C338: 0B313137
	v_mul_f32_e32 v153, v55, v153                              // 00000000C33C: 0B333337
	v_mul_f32_e32 v154, v55, v154                              // 00000000C340: 0B353537
	v_mul_f32_e32 v155, v55, v155                              // 00000000C344: 0B373737
	v_mul_f32_e32 v156, v55, v156                              // 00000000C348: 0B393937
	v_mul_f32_e32 v157, v55, v157                              // 00000000C34C: 0B3B3B37
	v_mul_f32_e32 v158, v55, v158                              // 00000000C350: 0B3D3D37
	v_mul_f32_e32 v159, v55, v159                              // 00000000C354: 0B3F3F37
	v_mul_f32_dpp v144, v248, v144 quad_perm:[0,0,0,0] row_mask:0xf bank_mask:0xf// 00000000C358: 0B2120FA FF0000F8
	v_mul_f32_dpp v145, v248, v145 quad_perm:[1,1,1,1] row_mask:0xf bank_mask:0xf// 00000000C360: 0B2322FA FF0055F8
	v_mul_f32_dpp v146, v248, v146 quad_perm:[2,2,2,2] row_mask:0xf bank_mask:0xf// 00000000C368: 0B2524FA FF00AAF8
	v_mul_f32_dpp v147, v248, v147 quad_perm:[3,3,3,3] row_mask:0xf bank_mask:0xf// 00000000C370: 0B2726FA FF00FFF8
	v_mul_f32_dpp v148, v249, v148 quad_perm:[0,0,0,0] row_mask:0xf bank_mask:0xf// 00000000C378: 0B2928FA FF0000F9
	v_mul_f32_dpp v149, v249, v149 quad_perm:[1,1,1,1] row_mask:0xf bank_mask:0xf// 00000000C380: 0B2B2AFA FF0055F9
	v_mul_f32_dpp v150, v249, v150 quad_perm:[2,2,2,2] row_mask:0xf bank_mask:0xf// 00000000C388: 0B2D2CFA FF00AAF9
	v_mul_f32_dpp v151, v249, v151 quad_perm:[3,3,3,3] row_mask:0xf bank_mask:0xf// 00000000C390: 0B2F2EFA FF00FFF9
	v_mul_f32_dpp v152, v250, v152 quad_perm:[0,0,0,0] row_mask:0xf bank_mask:0xf// 00000000C398: 0B3130FA FF0000FA
	v_mul_f32_dpp v153, v250, v153 quad_perm:[1,1,1,1] row_mask:0xf bank_mask:0xf// 00000000C3A0: 0B3332FA FF0055FA
	v_mul_f32_dpp v154, v250, v154 quad_perm:[2,2,2,2] row_mask:0xf bank_mask:0xf// 00000000C3A8: 0B3534FA FF00AAFA
	v_mul_f32_dpp v155, v250, v155 quad_perm:[3,3,3,3] row_mask:0xf bank_mask:0xf// 00000000C3B0: 0B3736FA FF00FFFA
	v_mul_f32_dpp v156, v251, v156 quad_perm:[0,0,0,0] row_mask:0xf bank_mask:0xf// 00000000C3B8: 0B3938FA FF0000FB
	v_mul_f32_dpp v157, v251, v157 quad_perm:[1,1,1,1] row_mask:0xf bank_mask:0xf// 00000000C3C0: 0B3B3AFA FF0055FB
	v_mul_f32_dpp v158, v251, v158 quad_perm:[2,2,2,2] row_mask:0xf bank_mask:0xf// 00000000C3C8: 0B3D3CFA FF00AAFB
	v_mul_f32_dpp v159, v251, v159 quad_perm:[3,3,3,3] row_mask:0xf bank_mask:0xf// 00000000C3D0: 0B3F3EFA FF00FFFB
	s_cmp_le_i32 s90, s89                                      // 00000000C3D8: BF05595A
	s_cbranch_scc1 label_28EB                                  // 00000000C3DC: BF850073
	v_mov_b32_e32 v69, 0xff800000                              // 00000000C3E0: 7E8A02FF FF800000
	s_mov_b32 s60, s90                                         // 00000000C3E8: BEBC005A
	s_add_u32 s61, s89, 0xff                                   // 00000000C3EC: 803DFF59 000000FF
	v_mov_b32_e32 v41, s61                                     // 00000000C3F4: 7E52023D
	v_lshrrev_b32_e32 v240, 4, v0                              // 00000000C3F8: 21E00084
	v_mul_i32_i24_e32 v240, 4, v240                            // 00000000C3FC: 0DE1E084
	v_add_u32_e32 v240, s60, v240                              // 00000000C400: 69E1E03C
	v_and_b32_e32 v42, 15, v0                                  // 00000000C404: 2654008F
	v_lshrrev_b32_e32 v42, 3, v42                              // 00000000C408: 20545483
	s_mov_b32 s61, 2                                           // 00000000C40C: BEBD0082
	s_mul_i32 s60, 16, s7                                      // 00000000C410: 923C0790
	v_add_u32_e32 v42, s61, v42                                // 00000000C414: 6854543D
	v_sub_u32_e32 v240, v240, v42                              // 00000000C418: 6BE055F0
	v_add_u32_e32 v240, s60, v240                              // 00000000C41C: 69E1E03C
	v_add_u32_e32 v241, 1, v240                                // 00000000C420: 69E3E081
	v_add_u32_e32 v242, 2, v240                                // 00000000C424: 69E5E082
	v_add_u32_e32 v243, 3, v240                                // 00000000C428: 69E7E083
	v_cmp_le_u32_e64 s[40:41], v240, v41                       // 00000000C42C: D0CB0028 000253F0
	v_add_u32_e32 v240, 64, v240                               // 00000000C434: 69E1E0C0
	s_nop 0                                                    // 00000000C438: BF800000
	v_cndmask_b32_e64 v144, v69, v144, s[40:41]                // 00000000C43C: D1000090 00A32145
	v_cmp_le_u32_e64 s[40:41], v241, v41                       // 00000000C444: D0CB0028 000253F1
	v_add_u32_e32 v241, 64, v241                               // 00000000C44C: 69E3E2C0
	s_nop 0                                                    // 00000000C450: BF800000
	v_cndmask_b32_e64 v145, v69, v145, s[40:41]                // 00000000C454: D1000091 00A32345
	v_cmp_le_u32_e64 s[40:41], v242, v41                       // 00000000C45C: D0CB0028 000253F2
	v_add_u32_e32 v242, 64, v242                               // 00000000C464: 69E5E4C0
	s_nop 0                                                    // 00000000C468: BF800000
	v_cndmask_b32_e64 v146, v69, v146, s[40:41]                // 00000000C46C: D1000092 00A32545
	v_cmp_le_u32_e64 s[40:41], v243, v41                       // 00000000C474: D0CB0028 000253F3
	v_add_u32_e32 v243, 64, v243                               // 00000000C47C: 69E7E6C0
	s_nop 0                                                    // 00000000C480: BF800000
	v_cndmask_b32_e64 v147, v69, v147, s[40:41]                // 00000000C484: D1000093 00A32745
	v_cmp_le_u32_e64 s[40:41], v240, v41                       // 00000000C48C: D0CB0028 000253F0
	v_add_u32_e32 v240, 64, v240                               // 00000000C494: 69E1E0C0
	s_nop 0                                                    // 00000000C498: BF800000
	v_cndmask_b32_e64 v148, v69, v148, s[40:41]                // 00000000C49C: D1000094 00A32945
	v_cmp_le_u32_e64 s[40:41], v241, v41                       // 00000000C4A4: D0CB0028 000253F1
	v_add_u32_e32 v241, 64, v241                               // 00000000C4AC: 69E3E2C0
	s_nop 0                                                    // 00000000C4B0: BF800000
	v_cndmask_b32_e64 v149, v69, v149, s[40:41]                // 00000000C4B4: D1000095 00A32B45
	v_cmp_le_u32_e64 s[40:41], v242, v41                       // 00000000C4BC: D0CB0028 000253F2
	v_add_u32_e32 v242, 64, v242                               // 00000000C4C4: 69E5E4C0
	s_nop 0                                                    // 00000000C4C8: BF800000
	v_cndmask_b32_e64 v150, v69, v150, s[40:41]                // 00000000C4CC: D1000096 00A32D45
	v_cmp_le_u32_e64 s[40:41], v243, v41                       // 00000000C4D4: D0CB0028 000253F3
	v_add_u32_e32 v243, 64, v243                               // 00000000C4DC: 69E7E6C0
	s_nop 0                                                    // 00000000C4E0: BF800000
	v_cndmask_b32_e64 v151, v69, v151, s[40:41]                // 00000000C4E4: D1000097 00A32F45
	v_cmp_le_u32_e64 s[40:41], v240, v41                       // 00000000C4EC: D0CB0028 000253F0
	v_add_u32_e32 v240, 64, v240                               // 00000000C4F4: 69E1E0C0
	s_nop 0                                                    // 00000000C4F8: BF800000
	v_cndmask_b32_e64 v152, v69, v152, s[40:41]                // 00000000C4FC: D1000098 00A33145
	v_cmp_le_u32_e64 s[40:41], v241, v41                       // 00000000C504: D0CB0028 000253F1
	v_add_u32_e32 v241, 64, v241                               // 00000000C50C: 69E3E2C0
	s_nop 0                                                    // 00000000C510: BF800000
	v_cndmask_b32_e64 v153, v69, v153, s[40:41]                // 00000000C514: D1000099 00A33345
	v_cmp_le_u32_e64 s[40:41], v242, v41                       // 00000000C51C: D0CB0028 000253F2
	v_add_u32_e32 v242, 64, v242                               // 00000000C524: 69E5E4C0
	s_nop 0                                                    // 00000000C528: BF800000
	v_cndmask_b32_e64 v154, v69, v154, s[40:41]                // 00000000C52C: D100009A 00A33545
	v_cmp_le_u32_e64 s[40:41], v243, v41                       // 00000000C534: D0CB0028 000253F3
	v_add_u32_e32 v243, 64, v243                               // 00000000C53C: 69E7E6C0
	s_nop 0                                                    // 00000000C540: BF800000
	v_cndmask_b32_e64 v155, v69, v155, s[40:41]                // 00000000C544: D100009B 00A33745
	v_cmp_le_u32_e64 s[40:41], v240, v41                       // 00000000C54C: D0CB0028 000253F0
	v_add_u32_e32 v240, 64, v240                               // 00000000C554: 69E1E0C0
	s_nop 0                                                    // 00000000C558: BF800000
	v_cndmask_b32_e64 v156, v69, v156, s[40:41]                // 00000000C55C: D100009C 00A33945
	v_cmp_le_u32_e64 s[40:41], v241, v41                       // 00000000C564: D0CB0028 000253F1
	v_add_u32_e32 v241, 64, v241                               // 00000000C56C: 69E3E2C0
	s_nop 0                                                    // 00000000C570: BF800000
	v_cndmask_b32_e64 v157, v69, v157, s[40:41]                // 00000000C574: D100009D 00A33B45
	v_cmp_le_u32_e64 s[40:41], v242, v41                       // 00000000C57C: D0CB0028 000253F2
	v_add_u32_e32 v242, 64, v242                               // 00000000C584: 69E5E4C0
	s_nop 0                                                    // 00000000C588: BF800000
	v_cndmask_b32_e64 v158, v69, v158, s[40:41]                // 00000000C58C: D100009E 00A33D45
	v_cmp_le_u32_e64 s[40:41], v243, v41                       // 00000000C594: D0CB0028 000253F3
	v_add_u32_e32 v243, 64, v243                               // 00000000C59C: 69E7E6C0
	s_nop 0                                                    // 00000000C5A0: BF800000
	v_cndmask_b32_e64 v159, v69, v159, s[40:41]                // 00000000C5A4: D100009F 00A33F45

000000000000c5ac <label_28EB>:
	s_add_u32 s90, s91, s90                                    // 00000000C5AC: 805A5A5B
	v_mov_b32_e32 v62, v144                                    // 00000000C5B0: 7E7C0390
	v_max3_f32 v62, v144, v145, v62                            // 00000000C5B4: D1D3003E 04FB2390
	v_max3_f32 v62, v146, v147, v62                            // 00000000C5BC: D1D3003E 04FB2792
	v_max3_f32 v62, v148, v149, v62                            // 00000000C5C4: D1D3003E 04FB2B94
	v_max3_f32 v62, v150, v151, v62                            // 00000000C5CC: D1D3003E 04FB2F96
	v_max3_f32 v62, v152, v153, v62                            // 00000000C5D4: D1D3003E 04FB3398
	v_max3_f32 v62, v154, v155, v62                            // 00000000C5DC: D1D3003E 04FB379A
	v_max3_f32 v62, v156, v157, v62                            // 00000000C5E4: D1D3003E 04FB3B9C
	v_max3_f32 v62, v158, v159, v62                            // 00000000C5EC: D1D3003E 04FB3F9E
	ds_write_b32 v11, v62 offset:16896                         // 00000000C5F4: D81A4200 00003E0B
	v_mul_f32_e32 v232, v64, v232                              // 00000000C5FC: 0BD1D140
	v_mul_f32_e32 v233, v64, v233                              // 00000000C600: 0BD3D340
	v_mul_f32_e32 v234, v64, v234                              // 00000000C604: 0BD5D540
	v_mul_f32_e32 v235, v64, v235                              // 00000000C608: 0BD7D740
	v_mul_f32_e32 v236, v64, v236                              // 00000000C60C: 0BD9D940
	v_mul_f32_e32 v237, v64, v237                              // 00000000C610: 0BDBDB40
	v_mul_f32_e32 v238, v64, v238                              // 00000000C614: 0BDDDD40
	v_mul_f32_e32 v239, v64, v239                              // 00000000C618: 0BDFDF40
	s_waitcnt lgkmcnt(0)                                       // 00000000C61C: BF8CC07F
	s_barrier                                                  // 00000000C620: BF8A0000
	ds_read_b32 v80, v10 offset:16896                          // 00000000C624: D86C4200 5000000A
	ds_read_b32 v81, v10 offset:16960                          // 00000000C62C: D86C4240 5100000A
	ds_read_b32 v82, v10 offset:17024                          // 00000000C634: D86C4280 5200000A
	ds_read_b32 v83, v10 offset:17088                          // 00000000C63C: D86C42C0 5300000A
	ds_read_b32 v84, v10 offset:17152                          // 00000000C644: D86C4300 5400000A
	ds_read_b32 v85, v10 offset:17216                          // 00000000C64C: D86C4340 5500000A
	ds_read_b32 v86, v10 offset:17280                          // 00000000C654: D86C4380 5600000A
	ds_read_b32 v87, v10 offset:17344                          // 00000000C65C: D86C43C0 5700000A
	ds_read_b32 v88, v10 offset:17408                          // 00000000C664: D86C4400 5800000A
	ds_read_b32 v89, v10 offset:17472                          // 00000000C66C: D86C4440 5900000A
	ds_read_b32 v90, v10 offset:17536                          // 00000000C674: D86C4480 5A00000A
	ds_read_b32 v91, v10 offset:17600                          // 00000000C67C: D86C44C0 5B00000A
	ds_read_b32 v92, v10 offset:17664                          // 00000000C684: D86C4500 5C00000A
	ds_read_b32 v93, v10 offset:17728                          // 00000000C68C: D86C4540 5D00000A
	ds_read_b32 v94, v10 offset:17792                          // 00000000C694: D86C4580 5E00000A
	ds_read_b32 v95, v10 offset:17856                          // 00000000C69C: D86C45C0 5F00000A
	v_cvt_f32_i32_e32 v200, v200                               // 00000000C6A4: 7F900BC8
	v_cvt_f32_i32_e32 v201, v201                               // 00000000C6A8: 7F920BC9
	v_cvt_f32_i32_e32 v202, v202                               // 00000000C6AC: 7F940BCA
	v_cvt_f32_i32_e32 v203, v203                               // 00000000C6B0: 7F960BCB
	v_cvt_f32_i32_e32 v204, v204                               // 00000000C6B4: 7F980BCC
	v_cvt_f32_i32_e32 v205, v205                               // 00000000C6B8: 7F9A0BCD
	v_cvt_f32_i32_e32 v206, v206                               // 00000000C6BC: 7F9C0BCE
	v_cvt_f32_i32_e32 v207, v207                               // 00000000C6C0: 7F9E0BCF
	v_mul_f32_e32 v200, v59, v200                              // 00000000C6C4: 0B91913B
	v_mul_f32_e32 v201, v59, v201                              // 00000000C6C8: 0B93933B
	v_mul_f32_e32 v202, v59, v202                              // 00000000C6CC: 0B95953B
	v_mul_f32_e32 v203, v59, v203                              // 00000000C6D0: 0B97973B
	v_mul_f32_e32 v204, v59, v204                              // 00000000C6D4: 0B99993B
	v_mul_f32_e32 v205, v59, v205                              // 00000000C6D8: 0B9B9B3B
	v_mul_f32_e32 v206, v59, v206                              // 00000000C6DC: 0B9D9D3B
	v_mul_f32_e32 v207, v59, v207                              // 00000000C6E0: 0B9F9F3B
	s_waitcnt lgkmcnt(0)                                       // 00000000C6E4: BF8CC07F
	v_max3_f32 v62, v80, v81, v62                              // 00000000C6E8: D1D3003E 04FAA350
	v_max3_f32 v62, v82, v83, v62                              // 00000000C6F0: D1D3003E 04FAA752
	v_max3_f32 v62, v84, v85, v62                              // 00000000C6F8: D1D3003E 04FAAB54
	v_max3_f32 v62, v86, v87, v62                              // 00000000C700: D1D3003E 04FAAF56
	v_max3_f32 v62, v88, v89, v62                              // 00000000C708: D1D3003E 04FAB358
	v_max3_f32 v62, v90, v91, v62                              // 00000000C710: D1D3003E 04FAB75A
	v_max3_f32 v62, v92, v93, v62                              // 00000000C718: D1D3003E 04FABB5C
	v_max3_f32 v62, v94, v95, v62                              // 00000000C720: D1D3003E 04FABF5E
	v_mov_b32_e32 v41, 0xff800000                              // 00000000C728: 7E5202FF FF800000
	v_cmp_eq_u32_e64 s[40:41], v41, v15                        // 00000000C730: D0CA0028 00021F29
	s_nop 1                                                    // 00000000C738: BF800001
	v_max_f32_e32 v18, v62, v15                                // 00000000C73C: 16241F3E
	v_mul_f32_e32 v67, s64, v18                                // 00000000C740: 0A862440
	v_fma_f32 v144, v144, s64, -v67                            // 00000000C744: D1CB0090 850C8190
	v_fma_f32 v145, v145, s64, -v67                            // 00000000C74C: D1CB0091 850C8191
	v_fma_f32 v146, v146, s64, -v67                            // 00000000C754: D1CB0092 850C8192
	v_fma_f32 v147, v147, s64, -v67                            // 00000000C75C: D1CB0093 850C8193
	v_fma_f32 v148, v148, s64, -v67                            // 00000000C764: D1CB0094 850C8194
	v_fma_f32 v149, v149, s64, -v67                            // 00000000C76C: D1CB0095 850C8195
	v_fma_f32 v150, v150, s64, -v67                            // 00000000C774: D1CB0096 850C8196
	v_fma_f32 v151, v151, s64, -v67                            // 00000000C77C: D1CB0097 850C8197
	v_fma_f32 v152, v152, s64, -v67                            // 00000000C784: D1CB0098 850C8198
	v_fma_f32 v153, v153, s64, -v67                            // 00000000C78C: D1CB0099 850C8199
	v_fma_f32 v154, v154, s64, -v67                            // 00000000C794: D1CB009A 850C819A
	v_fma_f32 v155, v155, s64, -v67                            // 00000000C79C: D1CB009B 850C819B
	v_fma_f32 v156, v156, s64, -v67                            // 00000000C7A4: D1CB009C 850C819C
	v_fma_f32 v157, v157, s64, -v67                            // 00000000C7AC: D1CB009D 850C819D
	v_fma_f32 v158, v158, s64, -v67                            // 00000000C7B4: D1CB009E 850C819E
	v_fma_f32 v159, v159, s64, -v67                            // 00000000C7BC: D1CB009F 850C819F
	v_exp_f32_e32 v144, v144                                   // 00000000C7C4: 7F204190
	v_exp_f32_e32 v145, v145                                   // 00000000C7C8: 7F224191
	v_exp_f32_e32 v146, v146                                   // 00000000C7CC: 7F244192
	v_exp_f32_e32 v147, v147                                   // 00000000C7D0: 7F264193
	v_exp_f32_e32 v148, v148                                   // 00000000C7D4: 7F284194
	v_exp_f32_e32 v149, v149                                   // 00000000C7D8: 7F2A4195
	v_exp_f32_e32 v150, v150                                   // 00000000C7DC: 7F2C4196
	v_exp_f32_e32 v151, v151                                   // 00000000C7E0: 7F2E4197
	v_exp_f32_e32 v152, v152                                   // 00000000C7E4: 7F304198
	v_exp_f32_e32 v153, v153                                   // 00000000C7E8: 7F324199
	v_exp_f32_e32 v154, v154                                   // 00000000C7EC: 7F34419A
	v_exp_f32_e32 v155, v155                                   // 00000000C7F0: 7F36419B
	v_exp_f32_e32 v156, v156                                   // 00000000C7F4: 7F38419C
	v_exp_f32_e32 v157, v157                                   // 00000000C7F8: 7F3A419D
	v_exp_f32_e32 v158, v158                                   // 00000000C7FC: 7F3C419E
	v_exp_f32_e32 v159, v159                                   // 00000000C800: 7F3E419F
	v_mul_f32_dpp v240, v252, v144 quad_perm:[0,0,0,0] row_mask:0xf bank_mask:0xf// 00000000C804: 0BE120FA FF0000FC
	v_mul_f32_dpp v241, v252, v145 quad_perm:[1,1,1,1] row_mask:0xf bank_mask:0xf// 00000000C80C: 0BE322FA FF0055FC
	v_mul_f32_dpp v242, v252, v146 quad_perm:[2,2,2,2] row_mask:0xf bank_mask:0xf// 00000000C814: 0BE524FA FF00AAFC
	v_mul_f32_dpp v243, v252, v147 quad_perm:[3,3,3,3] row_mask:0xf bank_mask:0xf// 00000000C81C: 0BE726FA FF00FFFC
	v_mul_f32_dpp v244, v253, v148 quad_perm:[0,0,0,0] row_mask:0xf bank_mask:0xf// 00000000C824: 0BE928FA FF0000FD
	v_mul_f32_dpp v245, v253, v149 quad_perm:[1,1,1,1] row_mask:0xf bank_mask:0xf// 00000000C82C: 0BEB2AFA FF0055FD
	v_mul_f32_dpp v246, v253, v150 quad_perm:[2,2,2,2] row_mask:0xf bank_mask:0xf// 00000000C834: 0BED2CFA FF00AAFD
	v_mul_f32_dpp v247, v253, v151 quad_perm:[3,3,3,3] row_mask:0xf bank_mask:0xf// 00000000C83C: 0BEF2EFA FF00FFFD
	v_mul_f32_dpp v248, v254, v152 quad_perm:[0,0,0,0] row_mask:0xf bank_mask:0xf// 00000000C844: 0BF130FA FF0000FE
	v_mul_f32_dpp v249, v254, v153 quad_perm:[1,1,1,1] row_mask:0xf bank_mask:0xf// 00000000C84C: 0BF332FA FF0055FE
	v_mul_f32_dpp v250, v254, v154 quad_perm:[2,2,2,2] row_mask:0xf bank_mask:0xf// 00000000C854: 0BF534FA FF00AAFE
	v_mul_f32_dpp v251, v254, v155 quad_perm:[3,3,3,3] row_mask:0xf bank_mask:0xf// 00000000C85C: 0BF736FA FF00FFFE
	v_mul_f32_dpp v252, v255, v156 quad_perm:[0,0,0,0] row_mask:0xf bank_mask:0xf// 00000000C864: 0BF938FA FF0000FF
	v_mul_f32_dpp v253, v255, v157 quad_perm:[1,1,1,1] row_mask:0xf bank_mask:0xf// 00000000C86C: 0BFB3AFA FF0055FF
	v_mul_f32_dpp v254, v255, v158 quad_perm:[2,2,2,2] row_mask:0xf bank_mask:0xf// 00000000C874: 0BFD3CFA FF00AAFF
	v_mul_f32_dpp v255, v255, v159 quad_perm:[3,3,3,3] row_mask:0xf bank_mask:0xf// 00000000C87C: 0BFF3EFA FF00FFFF
	v_mov_b32_e32 v62, 0x358637bd                              // 00000000C884: 7E7C02FF 358637BD
	v_max3_f32 v62, |v240|, |v241|, v62                        // 00000000C88C: D1D3033E 04FBE3F0
	v_max3_f32 v62, |v242|, |v243|, v62                        // 00000000C894: D1D3033E 04FBE7F2
	v_max3_f32 v62, |v244|, |v245|, v62                        // 00000000C89C: D1D3033E 04FBEBF4
	v_max3_f32 v62, |v246|, |v247|, v62                        // 00000000C8A4: D1D3033E 04FBEFF6
	v_max3_f32 v62, |v248|, |v249|, v62                        // 00000000C8AC: D1D3033E 04FBF3F8
	v_max3_f32 v62, |v250|, |v251|, v62                        // 00000000C8B4: D1D3033E 04FBF7FA
	v_max3_f32 v62, |v252|, |v253|, v62                        // 00000000C8BC: D1D3033E 04FBFBFC
	v_max3_f32 v62, |v254|, |v255|, v62                        // 00000000C8C4: D1D3033E 04FBFFFE
	ds_write_b32 v11, v62 offset:20992                         // 00000000C8CC: D81A5200 00003E0B
	v_sub_f32_e32 v64, v15, v18                                // 00000000C8D4: 0480250F
	v_cndmask_b32_e64 v64, v64, 0, s[40:41]                    // 00000000C8D8: D1000040 00A10140
	v_mov_b32_e32 v15, v18                                     // 00000000C8E0: 7E1E0312
	v_mul_f32_e32 v64, s64, v64                                // 00000000C8E4: 0A808040
	v_exp_f32_e32 v64, v64                                     // 00000000C8E8: 7E804140
	s_waitcnt lgkmcnt(0)                                       // 00000000C8EC: BF8CC07F
	s_barrier                                                  // 00000000C8F0: BF8A0000
	ds_read_b32 v80, v10 offset:20992                          // 00000000C8F4: D86C5200 5000000A
	ds_read_b32 v81, v10 offset:21056                          // 00000000C8FC: D86C5240 5100000A
	ds_read_b32 v82, v10 offset:21120                          // 00000000C904: D86C5280 5200000A
	ds_read_b32 v83, v10 offset:21184                          // 00000000C90C: D86C52C0 5300000A
	ds_read_b32 v84, v10 offset:21248                          // 00000000C914: D86C5300 5400000A
	ds_read_b32 v85, v10 offset:21312                          // 00000000C91C: D86C5340 5500000A
	ds_read_b32 v86, v10 offset:21376                          // 00000000C924: D86C5380 5600000A
	ds_read_b32 v87, v10 offset:21440                          // 00000000C92C: D86C53C0 5700000A
	ds_read_b32 v88, v10 offset:21504                          // 00000000C934: D86C5400 5800000A
	ds_read_b32 v89, v10 offset:21568                          // 00000000C93C: D86C5440 5900000A
	ds_read_b32 v90, v10 offset:21632                          // 00000000C944: D86C5480 5A00000A
	ds_read_b32 v91, v10 offset:21696                          // 00000000C94C: D86C54C0 5B00000A
	ds_read_b32 v92, v10 offset:21760                          // 00000000C954: D86C5500 5C00000A
	ds_read_b32 v93, v10 offset:21824                          // 00000000C95C: D86C5540 5D00000A
	ds_read_b32 v94, v10 offset:21888                          // 00000000C964: D86C5580 5E00000A
	ds_read_b32 v95, v10 offset:21952                          // 00000000C96C: D86C55C0 5F00000A
	v_mul_f32_e32 v48, v64, v48                                // 00000000C974: 0A606140
	v_mov_b32_e32 v18, v144                                    // 00000000C978: 7E240390
	v_add_f32_e32 v18, v145, v18                               // 00000000C97C: 02242591
	v_add_f32_e32 v18, v146, v18                               // 00000000C980: 02242592
	v_add_f32_e32 v18, v147, v18                               // 00000000C984: 02242593
	v_add_f32_e32 v18, v148, v18                               // 00000000C988: 02242594
	v_add_f32_e32 v18, v149, v18                               // 00000000C98C: 02242595
	v_add_f32_e32 v18, v150, v18                               // 00000000C990: 02242596
	v_add_f32_e32 v18, v151, v18                               // 00000000C994: 02242597
	v_add_f32_e32 v18, v152, v18                               // 00000000C998: 02242598
	v_add_f32_e32 v18, v153, v18                               // 00000000C99C: 02242599
	v_add_f32_e32 v18, v154, v18                               // 00000000C9A0: 0224259A
	v_add_f32_e32 v18, v155, v18                               // 00000000C9A4: 0224259B
	v_add_f32_e32 v18, v156, v18                               // 00000000C9A8: 0224259C
	v_add_f32_e32 v18, v157, v18                               // 00000000C9AC: 0224259D
	v_add_f32_e32 v18, v158, v18                               // 00000000C9B0: 0224259E
	v_add_f32_e32 v18, v159, v18                               // 00000000C9B4: 0224259F
	v_add_f32_e32 v48, v18, v48                                // 00000000C9B8: 02606112
	s_waitcnt lgkmcnt(0)                                       // 00000000C9BC: BF8CC07F
	v_max3_f32 v62, |v80|, |v81|, v62                          // 00000000C9C0: D1D3033E 04FAA350
	v_max3_f32 v62, |v82|, |v83|, v62                          // 00000000C9C8: D1D3033E 04FAA752
	v_max3_f32 v62, |v84|, |v85|, v62                          // 00000000C9D0: D1D3033E 04FAAB54
	v_max3_f32 v62, |v86|, |v87|, v62                          // 00000000C9D8: D1D3033E 04FAAF56
	v_max3_f32 v62, |v88|, |v89|, v62                          // 00000000C9E0: D1D3033E 04FAB358
	v_max3_f32 v62, |v90|, |v91|, v62                          // 00000000C9E8: D1D3033E 04FAB75A
	v_max3_f32 v62, |v92|, |v93|, v62                          // 00000000C9F0: D1D3033E 04FABB5C
	v_max3_f32 v62, |v94|, |v95|, v62                          // 00000000C9F8: D1D3033E 04FABF5E
	s_nop 2                                                    // 00000000CA00: BF800002
	v_rcp_f32_e32 v62, v62                                     // 00000000CA04: 7E7C453E
	s_nop 1                                                    // 00000000CA08: BF800001
	v_mul_f32_e32 v62, 0x42fe0000, v62                         // 00000000CA0C: 0A7C7CFF 42FE0000
	v_mul_f32_e32 v144, v62, v240                              // 00000000CA14: 0B21E13E
	v_mul_f32_e32 v145, v62, v241                              // 00000000CA18: 0B23E33E
	v_mul_f32_e32 v146, v62, v242                              // 00000000CA1C: 0B25E53E
	v_mul_f32_e32 v147, v62, v243                              // 00000000CA20: 0B27E73E
	v_mul_f32_e32 v148, v62, v244                              // 00000000CA24: 0B29E93E
	v_mul_f32_e32 v149, v62, v245                              // 00000000CA28: 0B2BEB3E
	v_mul_f32_e32 v150, v62, v246                              // 00000000CA2C: 0B2DED3E
	v_mul_f32_e32 v151, v62, v247                              // 00000000CA30: 0B2FEF3E
	v_mul_f32_e32 v152, v62, v248                              // 00000000CA34: 0B31F13E
	v_mul_f32_e32 v153, v62, v249                              // 00000000CA38: 0B33F33E
	v_mul_f32_e32 v154, v62, v250                              // 00000000CA3C: 0B35F53E
	v_mul_f32_e32 v155, v62, v251                              // 00000000CA40: 0B37F73E
	v_mul_f32_e32 v156, v62, v252                              // 00000000CA44: 0B39F93E
	v_mul_f32_e32 v157, v62, v253                              // 00000000CA48: 0B3BFB3E
	v_mul_f32_e32 v158, v62, v254                              // 00000000CA4C: 0B3DFD3E
	v_mul_f32_e32 v159, v62, v255                              // 00000000CA50: 0B3FFF3E
	v_cvt_i32_f32_e32 v144, v144                               // 00000000CA54: 7F201190
	v_cvt_i32_f32_e32 v145, v145                               // 00000000CA58: 7F221191
	v_cvt_i32_f32_e32 v146, v146                               // 00000000CA5C: 7F241192
	v_cvt_i32_f32_e32 v147, v147                               // 00000000CA60: 7F261193
	v_cvt_i32_f32_e32 v148, v148                               // 00000000CA64: 7F281194
	v_cvt_i32_f32_e32 v149, v149                               // 00000000CA68: 7F2A1195
	v_cvt_i32_f32_e32 v150, v150                               // 00000000CA6C: 7F2C1196
	v_cvt_i32_f32_e32 v151, v151                               // 00000000CA70: 7F2E1197
	v_cvt_i32_f32_e32 v152, v152                               // 00000000CA74: 7F301198
	v_cvt_i32_f32_e32 v153, v153                               // 00000000CA78: 7F321199
	v_cvt_i32_f32_e32 v154, v154                               // 00000000CA7C: 7F34119A
	v_cvt_i32_f32_e32 v155, v155                               // 00000000CA80: 7F36119B
	v_cvt_i32_f32_e32 v156, v156                               // 00000000CA84: 7F38119C
	v_cvt_i32_f32_e32 v157, v157                               // 00000000CA88: 7F3A119D
	v_cvt_i32_f32_e32 v158, v158                               // 00000000CA8C: 7F3C119E
	v_cvt_i32_f32_e32 v159, v159                               // 00000000CA90: 7F3E119F
	v_perm_b32 v144, v145, v144, s53                           // 00000000CA94: D1ED0090 00D72191
	v_perm_b32 v144, v146, v144, s54                           // 00000000CA9C: D1ED0090 00DB2192
	v_perm_b32 v144, v147, v144, s55                           // 00000000CAA4: D1ED0090 00DF2193
	v_perm_b32 v145, v149, v148, s53                           // 00000000CAAC: D1ED0091 00D72995
	v_perm_b32 v145, v150, v145, s54                           // 00000000CAB4: D1ED0091 00DB2396
	v_perm_b32 v145, v151, v145, s55                           // 00000000CABC: D1ED0091 00DF2397
	v_perm_b32 v146, v153, v152, s53                           // 00000000CAC4: D1ED0092 00D73199
	v_perm_b32 v146, v154, v146, s54                           // 00000000CACC: D1ED0092 00DB259A
	v_perm_b32 v146, v155, v146, s55                           // 00000000CAD4: D1ED0092 00DF259B
	v_perm_b32 v147, v157, v156, s53                           // 00000000CADC: D1ED0093 00D7399D
	v_perm_b32 v147, v158, v147, s54                           // 00000000CAE4: D1ED0093 00DB279E
	v_perm_b32 v147, v159, v147, s55                           // 00000000CAEC: D1ED0093 00DF279F
	ds_write_b32 v13, v144 offset:29184                        // 00000000CAF4: D81A7200 0000900D
	ds_write_b32 v13, v145 offset:30208                        // 00000000CAFC: D81A7600 0000910D
	ds_write_b32 v13, v146 offset:31232                        // 00000000CB04: D81A7A00 0000920D
	ds_write_b32 v13, v147 offset:32256                        // 00000000CB0C: D81A7E00 0000930D
	v_add_f32_e32 v232, v232, v200                             // 00000000CB14: 03D191E8
	v_add_f32_e32 v233, v233, v201                             // 00000000CB18: 03D393E9
	v_add_f32_e32 v234, v234, v202                             // 00000000CB1C: 03D595EA
	v_add_f32_e32 v235, v235, v203                             // 00000000CB20: 03D797EB
	v_add_f32_e32 v236, v236, v204                             // 00000000CB24: 03D999EC
	v_add_f32_e32 v237, v237, v205                             // 00000000CB28: 03DB9BED
	v_add_f32_e32 v238, v238, v206                             // 00000000CB2C: 03DD9DEE
	v_add_f32_e32 v239, v239, v207                             // 00000000CB30: 03DF9FEF
	v_rcp_f32_e32 v59, v62                                     // 00000000CB34: 7E76453E
	s_waitcnt lgkmcnt(0)                                       // 00000000CB38: BF8CC07F
	s_barrier                                                  // 00000000CB3C: BF8A0000
	ds_read_b64 v[144:145], v12 offset:29184                   // 00000000CB40: D8EC7200 9000000C
	ds_read_b64 v[146:147], v12 offset:29312                   // 00000000CB48: D8EC7280 9200000C
	ds_read_b64 v[148:149], v12 offset:30208                   // 00000000CB50: D8EC7600 9400000C
	ds_read_b64 v[150:151], v12 offset:30336                   // 00000000CB58: D8EC7680 9600000C
	ds_read_b64 v[152:153], v12 offset:31232                   // 00000000CB60: D8EC7A00 9800000C
	ds_read_b64 v[154:155], v12 offset:31360                   // 00000000CB68: D8EC7A80 9A00000C
	ds_read_b64 v[156:157], v12 offset:32256                   // 00000000CB70: D8EC7E00 9C00000C
	ds_read_b64 v[158:159], v12 offset:32384                   // 00000000CB78: D8EC7E80 9E00000C
	s_waitcnt vmcnt(15)                                        // 00000000CB80: BF8C0F7F
	v_mfma_i32_16x16x32_i8 v[192:195], a[64:65], v[128:129], 0 // 00000000CB84: D3D700C0 0A030140
	v_mfma_i32_16x16x32_i8 v[192:195], a[66:67], v[130:131], v[192:195]// 00000000CB8C: D3D700C0 0F030542
	buffer_load_dwordx4 a[112:115], v37, s[20:23], 0 offen offset:1024// 00000000CB94: E05C1400 80857025
	v_mfma_i32_16x16x32_i8 v[192:195], a[68:69], v[132:133], v[192:195]// 00000000CB9C: D3D700C0 0F030944
	v_mfma_i32_16x16x32_i8 v[192:195], a[70:71], v[134:135], v[192:195]// 00000000CBA4: D3D700C0 0F030D46
	v_mfma_i32_16x16x32_i8 v[192:195], a[72:73], v[136:137], v[192:195]// 00000000CBAC: D3D700C0 0F031148
	v_mfma_i32_16x16x32_i8 v[192:195], a[74:75], v[138:139], v[192:195]// 00000000CBB4: D3D700C0 0F03154A
	buffer_load_dwordx4 a[116:119], v38, s[20:23], 0 offen offset:1024// 00000000CBBC: E05C1400 80857426
	v_mfma_i32_16x16x32_i8 v[192:195], a[76:77], v[140:141], v[192:195]// 00000000CBC4: D3D700C0 0F03194C
	v_mfma_i32_16x16x32_i8 v[192:195], a[78:79], v[142:143], v[192:195]// 00000000CBCC: D3D700C0 0F031D4E
	v_mfma_i32_16x16x32_i8 v[196:199], a[80:81], v[128:129], 0 // 00000000CBD4: D3D700C4 0A030150
	v_mfma_i32_16x16x32_i8 v[196:199], a[82:83], v[130:131], v[196:199]// 00000000CBDC: D3D700C4 0F130552
	buffer_load_dwordx4 a[120:123], v39, s[20:23], 0 offen offset:1024// 00000000CBE4: E05C1400 80857827
	v_mfma_i32_16x16x32_i8 v[196:199], a[84:85], v[132:133], v[196:199]// 00000000CBEC: D3D700C4 0F130954
	v_mfma_i32_16x16x32_i8 v[196:199], a[86:87], v[134:135], v[196:199]// 00000000CBF4: D3D700C4 0F130D56
	v_mfma_i32_16x16x32_i8 v[196:199], a[88:89], v[136:137], v[196:199]// 00000000CBFC: D3D700C4 0F131158
	v_mfma_i32_16x16x32_i8 v[196:199], a[90:91], v[138:139], v[196:199]// 00000000CC04: D3D700C4 0F13155A
	buffer_load_dwordx4 a[124:127], v40, s[20:23], 0 offen offset:1024// 00000000CC0C: E05C1400 80857C28
	v_mfma_i32_16x16x32_i8 v[196:199], a[92:93], v[140:141], v[196:199]// 00000000CC14: D3D700C4 0F13195C
	s_lshr_b32 s57, s70, 4                                     // 00000000CC1C: 8F398446
	s_add_u32 s57, 48, s57                                     // 00000000CC20: 803939B0
	v_mfma_i32_16x16x32_i8 v[196:199], a[94:95], v[142:143], v[196:199]// 00000000CC24: D3D700C4 0F131D5E
	s_cmp_ge_u32 s57, s73                                      // 00000000CC2C: BF094939
	s_cselect_b32 s56, 0, s56                                  // 00000000CC30: 85383880
	v_mfma_i32_16x16x32_i8 v[200:203], a[64:65], v[144:145], 0 // 00000000CC34: D3D700C8 0A032140
	v_mfma_i32_16x16x32_i8 v[200:203], a[66:67], v[146:147], v[200:203]// 00000000CC3C: D3D700C8 0F232542
	v_mfma_i32_16x16x32_i8 v[200:203], a[68:69], v[148:149], v[200:203]// 00000000CC44: D3D700C8 0F232944
	v_mfma_i32_16x16x32_i8 v[200:203], a[70:71], v[150:151], v[200:203]// 00000000CC4C: D3D700C8 0F232D46
	v_mfma_i32_16x16x32_i8 v[200:203], a[72:73], v[152:153], v[200:203]// 00000000CC54: D3D700C8 0F233148
	v_mfma_i32_16x16x32_i8 v[200:203], a[74:75], v[154:155], v[200:203]// 00000000CC5C: D3D700C8 0F23354A
	v_mfma_i32_16x16x32_i8 v[200:203], a[76:77], v[156:157], v[200:203]// 00000000CC64: D3D700C8 0F23394C
	v_mfma_i32_16x16x32_i8 v[200:203], a[78:79], v[158:159], v[200:203]// 00000000CC6C: D3D700C8 0F233D4E
	v_mfma_i32_16x16x32_i8 v[204:207], a[80:81], v[144:145], 0 // 00000000CC74: D3D700CC 0A032150
	v_mfma_i32_16x16x32_i8 v[204:207], a[82:83], v[146:147], v[204:207]// 00000000CC7C: D3D700CC 0F332552
	v_mfma_i32_16x16x32_i8 v[204:207], a[84:85], v[148:149], v[204:207]// 00000000CC84: D3D700CC 0F332954
	v_mfma_i32_16x16x32_i8 v[204:207], a[86:87], v[150:151], v[204:207]// 00000000CC8C: D3D700CC 0F332D56
	v_mfma_i32_16x16x32_i8 v[204:207], a[88:89], v[152:153], v[204:207]// 00000000CC94: D3D700CC 0F333158
	v_mfma_i32_16x16x32_i8 v[204:207], a[90:91], v[154:155], v[204:207]// 00000000CC9C: D3D700CC 0F33355A
	v_mfma_i32_16x16x32_i8 v[204:207], a[92:93], v[156:157], v[204:207]// 00000000CCA4: D3D700CC 0F33395C
	v_mfma_i32_16x16x32_i8 v[204:207], a[94:95], v[158:159], v[204:207]// 00000000CCAC: D3D700CC 0F333D5E
	v_add_u32_e32 v1, s56, v1                                  // 00000000CCB4: 68020238
	s_addk_i32 s70, 0x100                                      // 00000000CCB8: B7460100
	s_cmp_lt_i32 s70, s71                                      // 00000000CCBC: BF044746
	s_cbranch_scc0 label_303B                                  // 00000000CCC0: BF84058A
	s_waitcnt vmcnt(8) lgkmcnt(0)                              // 00000000CCC4: BF8C0078
	v_mul_u32_u24_dpp v41, v19, v68 row_newbcast:0 row_mask:0xf bank_mask:0xf// 00000000CCC8: 105288FA FF015013
	v_mul_u32_u24_dpp v42, v19, v68 row_newbcast:4 row_mask:0xf bank_mask:0xf// 00000000CCD0: 105488FA FF015413
	v_mul_u32_u24_dpp v43, v19, v68 row_newbcast:8 row_mask:0xf bank_mask:0xf// 00000000CCD8: 105688FA FF015813
	v_mul_u32_u24_dpp v44, v19, v68 row_newbcast:12 row_mask:0xf bank_mask:0xf// 00000000CCE0: 105888FA FF015C13
	v_add_u32_e32 v25, v41, v6                                 // 00000000CCE8: 68320D29
	v_add_u32_e32 v26, v42, v6                                 // 00000000CCEC: 68340D2A
	v_add_u32_e32 v27, v43, v6                                 // 00000000CCF0: 68360D2B
	v_add_u32_e32 v28, v44, v6                                 // 00000000CCF4: 68380D2C
	v_mul_u32_u24_dpp v41, v19, v78 quad_perm:[0,0,0,0] row_mask:0xf bank_mask:0xf// 00000000CCF8: 10529CFA FF000013
	v_add_u32_e32 v2, v41, v74                                 // 00000000CD00: 68049529
	v_mul_u32_u24_dpp v41, v19, v78 quad_perm:[0,0,0,0] row_mask:0xf bank_mask:0xf// 00000000CD04: 10529CFA FF000013
	v_add_u32_e32 v70, v41, v75                                // 00000000CD0C: 688C9729
	v_mfma_i32_16x16x32_i8 v[128:131], a[32:33], v[96:97], 0   // 00000000CD10: D3D70080 0A02C120
	v_mfma_i32_16x16x32_i8 v[128:131], a[34:35], v[98:99], v[128:131]// 00000000CD18: D3D70080 0E02C522
	buffer_load_dwordx4 a[0:3], v25, s[16:19], 0 offen         // 00000000CD20: E05C1000 80840019
	v_mfma_i32_16x16x32_i8 v[128:131], a[36:37], v[100:101], v[128:131]// 00000000CD28: D3D70080 0E02C924
	v_mfma_i32_16x16x32_i8 v[128:131], a[38:39], v[102:103], v[128:131]// 00000000CD30: D3D70080 0E02CD26
	buffer_load_dword v20, v1, s[24:27], 0 offen               // 00000000CD38: E0501000 80061401
	v_mfma_i32_16x16x32_i8 v[132:135], a[40:41], v[96:97], 0   // 00000000CD40: D3D70084 0A02C128
	v_mfma_i32_16x16x32_i8 v[132:135], a[42:43], v[98:99], v[132:135]// 00000000CD48: D3D70084 0E12C52A
	buffer_load_dwordx4 a[4:7], v25, s[16:19], 0 offen offset:1024// 00000000CD50: E05C1400 80840419
	v_mfma_i32_16x16x32_i8 v[132:135], a[44:45], v[100:101], v[132:135]// 00000000CD58: D3D70084 0E12C92C
	v_mfma_i32_16x16x32_i8 v[132:135], a[46:47], v[102:103], v[132:135]// 00000000CD60: D3D70084 0E12CD2E
	v_mfma_i32_16x16x32_i8 v[136:139], a[48:49], v[96:97], 0   // 00000000CD68: D3D70088 0A02C130
	v_mfma_i32_16x16x32_i8 v[136:139], a[50:51], v[98:99], v[136:139]// 00000000CD70: D3D70088 0E22C532
	buffer_load_dwordx4 a[8:11], v26, s[16:19], 0 offen        // 00000000CD78: E05C1000 8084081A
	v_mfma_i32_16x16x32_i8 v[136:139], a[52:53], v[100:101], v[136:139]// 00000000CD80: D3D70088 0E22C934
	v_mfma_i32_16x16x32_i8 v[136:139], a[54:55], v[102:103], v[136:139]// 00000000CD88: D3D70088 0E22CD36
	v_mfma_i32_16x16x32_i8 v[140:143], a[56:57], v[96:97], 0   // 00000000CD90: D3D7008C 0A02C138
	v_mfma_i32_16x16x32_i8 v[140:143], a[58:59], v[98:99], v[140:143]// 00000000CD98: D3D7008C 0E32C53A
	buffer_load_dwordx4 a[12:15], v26, s[16:19], 0 offen offset:1024// 00000000CDA0: E05C1400 80840C1A
	v_mfma_i32_16x16x32_i8 v[140:143], a[60:61], v[100:101], v[140:143]// 00000000CDA8: D3D7008C 0E32C93C
	v_mfma_i32_16x16x32_i8 v[140:143], a[62:63], v[102:103], v[140:143]// 00000000CDB0: D3D7008C 0E32CD3E
	v_mfma_i32_16x16x32_i8 v[144:147], a[32:33], v[104:105], 0 // 00000000CDB8: D3D70090 0A02D120
	v_mfma_i32_16x16x32_i8 v[144:147], a[34:35], v[106:107], v[144:147]// 00000000CDC0: D3D70090 0E42D522
	v_mfma_i32_16x16x32_i8 v[144:147], a[36:37], v[108:109], v[144:147]// 00000000CDC8: D3D70090 0E42D924
	v_mfma_i32_16x16x32_i8 v[144:147], a[38:39], v[110:111], v[144:147]// 00000000CDD0: D3D70090 0E42DD26
	v_mfma_i32_16x16x32_i8 v[148:151], a[40:41], v[104:105], 0 // 00000000CDD8: D3D70094 0A02D128
	v_mfma_i32_16x16x32_i8 v[148:151], a[42:43], v[106:107], v[148:151]// 00000000CDE0: D3D70094 0E52D52A
	v_mfma_i32_16x16x32_i8 v[148:151], a[44:45], v[108:109], v[148:151]// 00000000CDE8: D3D70094 0E52D92C
	v_mfma_i32_16x16x32_i8 v[148:151], a[46:47], v[110:111], v[148:151]// 00000000CDF0: D3D70094 0E52DD2E
	v_mfma_i32_16x16x32_i8 v[152:155], a[48:49], v[104:105], 0 // 00000000CDF8: D3D70098 0A02D130
	v_mfma_i32_16x16x32_i8 v[152:155], a[50:51], v[106:107], v[152:155]// 00000000CE00: D3D70098 0E62D532
	v_mfma_i32_16x16x32_i8 v[152:155], a[52:53], v[108:109], v[152:155]// 00000000CE08: D3D70098 0E62D934
	v_mfma_i32_16x16x32_i8 v[152:155], a[54:55], v[110:111], v[152:155]// 00000000CE10: D3D70098 0E62DD36
	v_mfma_i32_16x16x32_i8 v[156:159], a[56:57], v[104:105], 0 // 00000000CE18: D3D7009C 0A02D138
	v_mfma_i32_16x16x32_i8 v[156:159], a[58:59], v[106:107], v[156:159]// 00000000CE20: D3D7009C 0E72D53A
	v_mfma_i32_16x16x32_i8 v[156:159], a[60:61], v[108:109], v[156:159]// 00000000CE28: D3D7009C 0E72D93C
	v_mfma_i32_16x16x32_i8 v[156:159], a[62:63], v[110:111], v[156:159]// 00000000CE30: D3D7009C 0E72DD3E
	buffer_load_dword v52, v2, s[32:35], 0 offen               // 00000000CE38: E0501000 80083402
	v_mov_b32_dpp v41, v53 row_shr:4 row_mask:0xf bank_mask:0xf// 00000000CE40: 7E5202FA FF011435
	v_mov_b32_dpp v42, v53 row_shl:4 row_mask:0xf bank_mask:0xf// 00000000CE48: 7E5402FA FF010435
	v_cndmask_b32_e64 v248, v53, v41, s[44:45]                 // 00000000CE50: D10000F8 00B25335
	v_cndmask_b32_e64 v249, v42, v53, s[44:45]                 // 00000000CE58: D10000F9 00B26B2A
	v_mov_b32_dpp v41, v248 row_shr:8 row_mask:0xf bank_mask:0xf// 00000000CE60: 7E5202FA FF0118F8
	v_mov_b32_dpp v42, v248 row_shl:8 row_mask:0xf bank_mask:0xf// 00000000CE68: 7E5402FA FF0108F8
	v_mov_b32_dpp v43, v249 row_shr:8 row_mask:0xf bank_mask:0xf// 00000000CE70: 7E5602FA FF0118F9
	v_mov_b32_dpp v44, v249 row_shl:8 row_mask:0xf bank_mask:0xf// 00000000CE78: 7E5802FA FF0108F9
	v_mov_b32_e32 v45, v248                                    // 00000000CE80: 7E5A03F8
	v_mov_b32_e32 v46, v249                                    // 00000000CE84: 7E5C03F9
	v_cndmask_b32_e64 v248, v45, v41, s[42:43]                 // 00000000CE88: D10000F8 00AA532D
	v_cndmask_b32_e64 v250, v45, v42, s[78:79]                 // 00000000CE90: D10000FA 013A552D
	v_cndmask_b32_e64 v249, v46, v43, s[42:43]                 // 00000000CE98: D10000F9 00AA572E
	v_cndmask_b32_e64 v251, v46, v44, s[78:79]                 // 00000000CEA0: D10000FB 013A592E
	v_mov_b32_dpp v41, v73 row_shr:4 row_mask:0xf bank_mask:0xf// 00000000CEA8: 7E5202FA FF011449
	v_mov_b32_dpp v42, v73 row_shl:4 row_mask:0xf bank_mask:0xf// 00000000CEB0: 7E5402FA FF010449
	v_cndmask_b32_e64 v252, v73, v41, s[44:45]                 // 00000000CEB8: D10000FC 00B25349
	v_cndmask_b32_e64 v253, v42, v73, s[44:45]                 // 00000000CEC0: D10000FD 00B2932A
	v_mov_b32_dpp v41, v252 row_shr:8 row_mask:0xf bank_mask:0xf// 00000000CEC8: 7E5202FA FF0118FC
	v_mov_b32_dpp v42, v252 row_shl:8 row_mask:0xf bank_mask:0xf// 00000000CED0: 7E5402FA FF0108FC
	v_mov_b32_dpp v43, v253 row_shr:8 row_mask:0xf bank_mask:0xf// 00000000CED8: 7E5602FA FF0118FD
	v_mov_b32_dpp v44, v253 row_shl:8 row_mask:0xf bank_mask:0xf// 00000000CEE0: 7E5802FA FF0108FD
	v_mov_b32_e32 v45, v252                                    // 00000000CEE8: 7E5A03FC
	v_mov_b32_e32 v46, v253                                    // 00000000CEEC: 7E5C03FD
	v_cndmask_b32_e64 v252, v45, v41, s[42:43]                 // 00000000CEF0: D10000FC 00AA532D
	v_cndmask_b32_e64 v254, v45, v42, s[78:79]                 // 00000000CEF8: D10000FE 013A552D
	v_cndmask_b32_e64 v253, v46, v43, s[42:43]                 // 00000000CF00: D10000FD 00AA572E
	v_cndmask_b32_e64 v255, v46, v44, s[78:79]                 // 00000000CF08: D10000FF 013A592E
	buffer_load_dword v72, v70, s[36:39], 0 offen              // 00000000CF10: E0501000 80094846
	v_cvt_f32_i32_e32 v128, v128                               // 00000000CF18: 7F000B80
	v_cvt_f32_i32_e32 v129, v129                               // 00000000CF1C: 7F020B81
	v_cvt_f32_i32_e32 v130, v130                               // 00000000CF20: 7F040B82
	v_cvt_f32_i32_e32 v131, v131                               // 00000000CF24: 7F060B83
	v_cvt_f32_i32_e32 v132, v132                               // 00000000CF28: 7F080B84
	v_cvt_f32_i32_e32 v133, v133                               // 00000000CF2C: 7F0A0B85
	v_cvt_f32_i32_e32 v134, v134                               // 00000000CF30: 7F0C0B86
	v_cvt_f32_i32_e32 v135, v135                               // 00000000CF34: 7F0E0B87
	v_cvt_f32_i32_e32 v136, v136                               // 00000000CF38: 7F100B88
	v_cvt_f32_i32_e32 v137, v137                               // 00000000CF3C: 7F120B89
	v_cvt_f32_i32_e32 v138, v138                               // 00000000CF40: 7F140B8A
	v_cvt_f32_i32_e32 v139, v139                               // 00000000CF44: 7F160B8B
	v_cvt_f32_i32_e32 v140, v140                               // 00000000CF48: 7F180B8C
	v_cvt_f32_i32_e32 v141, v141                               // 00000000CF4C: 7F1A0B8D
	v_cvt_f32_i32_e32 v142, v142                               // 00000000CF50: 7F1C0B8E
	v_cvt_f32_i32_e32 v143, v143                               // 00000000CF54: 7F1E0B8F
	v_mul_f32_e32 v128, v54, v128                              // 00000000CF58: 0B010136
	v_mul_f32_e32 v129, v54, v129                              // 00000000CF5C: 0B030336
	v_mul_f32_e32 v130, v54, v130                              // 00000000CF60: 0B050536
	v_mul_f32_e32 v131, v54, v131                              // 00000000CF64: 0B070736
	v_mul_f32_e32 v132, v54, v132                              // 00000000CF68: 0B090936
	v_mul_f32_e32 v133, v54, v133                              // 00000000CF6C: 0B0B0B36
	v_mul_f32_e32 v134, v54, v134                              // 00000000CF70: 0B0D0D36
	v_mul_f32_e32 v135, v54, v135                              // 00000000CF74: 0B0F0F36
	v_mul_f32_e32 v136, v54, v136                              // 00000000CF78: 0B111136
	v_mul_f32_e32 v137, v54, v137                              // 00000000CF7C: 0B131336
	v_mul_f32_e32 v138, v54, v138                              // 00000000CF80: 0B151536
	v_mul_f32_e32 v139, v54, v139                              // 00000000CF84: 0B171736
	v_mul_f32_e32 v140, v54, v140                              // 00000000CF88: 0B191936
	v_mul_f32_e32 v141, v54, v141                              // 00000000CF8C: 0B1B1B36
	v_mul_f32_e32 v142, v54, v142                              // 00000000CF90: 0B1D1D36
	v_mul_f32_e32 v143, v54, v143                              // 00000000CF94: 0B1F1F36
	buffer_load_dwordx4 a[16:19], v27, s[16:19], 0 offen       // 00000000CF98: E05C1000 8084101B
	v_mul_f32_dpp v128, v248, v128 quad_perm:[0,0,0,0] row_mask:0xf bank_mask:0xf// 00000000CFA0: 0B0100FA FF0000F8
	v_mul_f32_dpp v129, v248, v129 quad_perm:[1,1,1,1] row_mask:0xf bank_mask:0xf// 00000000CFA8: 0B0302FA FF0055F8
	v_mul_f32_dpp v130, v248, v130 quad_perm:[2,2,2,2] row_mask:0xf bank_mask:0xf// 00000000CFB0: 0B0504FA FF00AAF8
	v_mul_f32_dpp v131, v248, v131 quad_perm:[3,3,3,3] row_mask:0xf bank_mask:0xf// 00000000CFB8: 0B0706FA FF00FFF8
	v_mul_f32_dpp v132, v249, v132 quad_perm:[0,0,0,0] row_mask:0xf bank_mask:0xf// 00000000CFC0: 0B0908FA FF0000F9
	v_mul_f32_dpp v133, v249, v133 quad_perm:[1,1,1,1] row_mask:0xf bank_mask:0xf// 00000000CFC8: 0B0B0AFA FF0055F9
	v_mul_f32_dpp v134, v249, v134 quad_perm:[2,2,2,2] row_mask:0xf bank_mask:0xf// 00000000CFD0: 0B0D0CFA FF00AAF9
	v_mul_f32_dpp v135, v249, v135 quad_perm:[3,3,3,3] row_mask:0xf bank_mask:0xf// 00000000CFD8: 0B0F0EFA FF00FFF9
	v_mul_f32_dpp v136, v250, v136 quad_perm:[0,0,0,0] row_mask:0xf bank_mask:0xf// 00000000CFE0: 0B1110FA FF0000FA
	v_mul_f32_dpp v137, v250, v137 quad_perm:[1,1,1,1] row_mask:0xf bank_mask:0xf// 00000000CFE8: 0B1312FA FF0055FA
	v_mul_f32_dpp v138, v250, v138 quad_perm:[2,2,2,2] row_mask:0xf bank_mask:0xf// 00000000CFF0: 0B1514FA FF00AAFA
	v_mul_f32_dpp v139, v250, v139 quad_perm:[3,3,3,3] row_mask:0xf bank_mask:0xf// 00000000CFF8: 0B1716FA FF00FFFA
	v_mul_f32_dpp v140, v251, v140 quad_perm:[0,0,0,0] row_mask:0xf bank_mask:0xf// 00000000D000: 0B1918FA FF0000FB
	v_mul_f32_dpp v141, v251, v141 quad_perm:[1,1,1,1] row_mask:0xf bank_mask:0xf// 00000000D008: 0B1B1AFA FF0055FB
	v_mul_f32_dpp v142, v251, v142 quad_perm:[2,2,2,2] row_mask:0xf bank_mask:0xf// 00000000D010: 0B1D1CFA FF00AAFB
	v_mul_f32_dpp v143, v251, v143 quad_perm:[3,3,3,3] row_mask:0xf bank_mask:0xf// 00000000D018: 0B1F1EFA FF00FFFB
	buffer_load_dwordx4 a[20:23], v27, s[16:19], 0 offen offset:1024// 00000000D020: E05C1400 8084141B
	s_cmp_le_i32 s90, s89                                      // 00000000D028: BF05595A
	s_cbranch_scc1 label_2BFF                                  // 00000000D02C: BF850073
	v_mov_b32_e32 v69, 0xff800000                              // 00000000D030: 7E8A02FF FF800000
	s_mov_b32 s60, s90                                         // 00000000D038: BEBC005A
	s_add_u32 s61, s89, 0xff                                   // 00000000D03C: 803DFF59 000000FF
	v_mov_b32_e32 v41, s61                                     // 00000000D044: 7E52023D
	v_lshrrev_b32_e32 v240, 4, v0                              // 00000000D048: 21E00084
	v_mul_i32_i24_e32 v240, 4, v240                            // 00000000D04C: 0DE1E084
	v_add_u32_e32 v240, s60, v240                              // 00000000D050: 69E1E03C
	v_and_b32_e32 v42, 15, v0                                  // 00000000D054: 2654008F
	v_lshrrev_b32_e32 v42, 3, v42                              // 00000000D058: 20545483
	s_mov_b32 s61, 0                                           // 00000000D05C: BEBD0080
	s_mul_i32 s60, 16, s7                                      // 00000000D060: 923C0790
	v_add_u32_e32 v42, s61, v42                                // 00000000D064: 6854543D
	v_sub_u32_e32 v240, v240, v42                              // 00000000D068: 6BE055F0
	v_add_u32_e32 v240, s60, v240                              // 00000000D06C: 69E1E03C
	v_add_u32_e32 v241, 1, v240                                // 00000000D070: 69E3E081
	v_add_u32_e32 v242, 2, v240                                // 00000000D074: 69E5E082
	v_add_u32_e32 v243, 3, v240                                // 00000000D078: 69E7E083
	v_cmp_le_u32_e64 s[40:41], v240, v41                       // 00000000D07C: D0CB0028 000253F0
	v_add_u32_e32 v240, 64, v240                               // 00000000D084: 69E1E0C0
	s_nop 0                                                    // 00000000D088: BF800000
	v_cndmask_b32_e64 v128, v69, v128, s[40:41]                // 00000000D08C: D1000080 00A30145
	v_cmp_le_u32_e64 s[40:41], v241, v41                       // 00000000D094: D0CB0028 000253F1
	v_add_u32_e32 v241, 64, v241                               // 00000000D09C: 69E3E2C0
	s_nop 0                                                    // 00000000D0A0: BF800000
	v_cndmask_b32_e64 v129, v69, v129, s[40:41]                // 00000000D0A4: D1000081 00A30345
	v_cmp_le_u32_e64 s[40:41], v242, v41                       // 00000000D0AC: D0CB0028 000253F2
	v_add_u32_e32 v242, 64, v242                               // 00000000D0B4: 69E5E4C0
	s_nop 0                                                    // 00000000D0B8: BF800000
	v_cndmask_b32_e64 v130, v69, v130, s[40:41]                // 00000000D0BC: D1000082 00A30545
	v_cmp_le_u32_e64 s[40:41], v243, v41                       // 00000000D0C4: D0CB0028 000253F3
	v_add_u32_e32 v243, 64, v243                               // 00000000D0CC: 69E7E6C0
	s_nop 0                                                    // 00000000D0D0: BF800000
	v_cndmask_b32_e64 v131, v69, v131, s[40:41]                // 00000000D0D4: D1000083 00A30745
	v_cmp_le_u32_e64 s[40:41], v240, v41                       // 00000000D0DC: D0CB0028 000253F0
	v_add_u32_e32 v240, 64, v240                               // 00000000D0E4: 69E1E0C0
	s_nop 0                                                    // 00000000D0E8: BF800000
	v_cndmask_b32_e64 v132, v69, v132, s[40:41]                // 00000000D0EC: D1000084 00A30945
	v_cmp_le_u32_e64 s[40:41], v241, v41                       // 00000000D0F4: D0CB0028 000253F1
	v_add_u32_e32 v241, 64, v241                               // 00000000D0FC: 69E3E2C0
	s_nop 0                                                    // 00000000D100: BF800000
	v_cndmask_b32_e64 v133, v69, v133, s[40:41]                // 00000000D104: D1000085 00A30B45
	v_cmp_le_u32_e64 s[40:41], v242, v41                       // 00000000D10C: D0CB0028 000253F2
	v_add_u32_e32 v242, 64, v242                               // 00000000D114: 69E5E4C0
	s_nop 0                                                    // 00000000D118: BF800000
	v_cndmask_b32_e64 v134, v69, v134, s[40:41]                // 00000000D11C: D1000086 00A30D45
	v_cmp_le_u32_e64 s[40:41], v243, v41                       // 00000000D124: D0CB0028 000253F3
	v_add_u32_e32 v243, 64, v243                               // 00000000D12C: 69E7E6C0
	s_nop 0                                                    // 00000000D130: BF800000
	v_cndmask_b32_e64 v135, v69, v135, s[40:41]                // 00000000D134: D1000087 00A30F45
	v_cmp_le_u32_e64 s[40:41], v240, v41                       // 00000000D13C: D0CB0028 000253F0
	v_add_u32_e32 v240, 64, v240                               // 00000000D144: 69E1E0C0
	s_nop 0                                                    // 00000000D148: BF800000
	v_cndmask_b32_e64 v136, v69, v136, s[40:41]                // 00000000D14C: D1000088 00A31145
	v_cmp_le_u32_e64 s[40:41], v241, v41                       // 00000000D154: D0CB0028 000253F1
	v_add_u32_e32 v241, 64, v241                               // 00000000D15C: 69E3E2C0
	s_nop 0                                                    // 00000000D160: BF800000
	v_cndmask_b32_e64 v137, v69, v137, s[40:41]                // 00000000D164: D1000089 00A31345
	v_cmp_le_u32_e64 s[40:41], v242, v41                       // 00000000D16C: D0CB0028 000253F2
	v_add_u32_e32 v242, 64, v242                               // 00000000D174: 69E5E4C0
	s_nop 0                                                    // 00000000D178: BF800000
	v_cndmask_b32_e64 v138, v69, v138, s[40:41]                // 00000000D17C: D100008A 00A31545
	v_cmp_le_u32_e64 s[40:41], v243, v41                       // 00000000D184: D0CB0028 000253F3
	v_add_u32_e32 v243, 64, v243                               // 00000000D18C: 69E7E6C0
	s_nop 0                                                    // 00000000D190: BF800000
	v_cndmask_b32_e64 v139, v69, v139, s[40:41]                // 00000000D194: D100008B 00A31745
	v_cmp_le_u32_e64 s[40:41], v240, v41                       // 00000000D19C: D0CB0028 000253F0
	v_add_u32_e32 v240, 64, v240                               // 00000000D1A4: 69E1E0C0
	s_nop 0                                                    // 00000000D1A8: BF800000
	v_cndmask_b32_e64 v140, v69, v140, s[40:41]                // 00000000D1AC: D100008C 00A31945
	v_cmp_le_u32_e64 s[40:41], v241, v41                       // 00000000D1B4: D0CB0028 000253F1
	v_add_u32_e32 v241, 64, v241                               // 00000000D1BC: 69E3E2C0
	s_nop 0                                                    // 00000000D1C0: BF800000
	v_cndmask_b32_e64 v141, v69, v141, s[40:41]                // 00000000D1C4: D100008D 00A31B45
	v_cmp_le_u32_e64 s[40:41], v242, v41                       // 00000000D1CC: D0CB0028 000253F2
	v_add_u32_e32 v242, 64, v242                               // 00000000D1D4: 69E5E4C0
	s_nop 0                                                    // 00000000D1D8: BF800000
	v_cndmask_b32_e64 v142, v69, v142, s[40:41]                // 00000000D1DC: D100008E 00A31D45
	v_cmp_le_u32_e64 s[40:41], v243, v41                       // 00000000D1E4: D0CB0028 000253F3
	v_add_u32_e32 v243, 64, v243                               // 00000000D1EC: 69E7E6C0
	s_nop 0                                                    // 00000000D1F0: BF800000
	v_cndmask_b32_e64 v143, v69, v143, s[40:41]                // 00000000D1F4: D100008F 00A31F45

000000000000d1fc <label_2BFF>:
	v_mov_b32_e32 v62, v128                                    // 00000000D1FC: 7E7C0380
	v_max3_f32 v62, v128, v129, v62                            // 00000000D200: D1D3003E 04FB0380
	v_max3_f32 v62, v130, v131, v62                            // 00000000D208: D1D3003E 04FB0782
	v_max3_f32 v62, v132, v133, v62                            // 00000000D210: D1D3003E 04FB0B84
	v_max3_f32 v62, v134, v135, v62                            // 00000000D218: D1D3003E 04FB0F86
	v_max3_f32 v62, v136, v137, v62                            // 00000000D220: D1D3003E 04FB1388
	v_max3_f32 v62, v138, v139, v62                            // 00000000D228: D1D3003E 04FB178A
	v_max3_f32 v62, v140, v141, v62                            // 00000000D230: D1D3003E 04FB1B8C
	v_max3_f32 v62, v142, v143, v62                            // 00000000D238: D1D3003E 04FB1F8E
	ds_write_b32 v11, v62 offset:16896                         // 00000000D240: D81A4200 00003E0B
	buffer_load_dwordx4 a[24:27], v28, s[16:19], 0 offen       // 00000000D248: E05C1000 8084181C
	v_mul_u32_u24_dpp v41, v19, v68 row_newbcast:1 row_mask:0xf bank_mask:0xf// 00000000D250: 105288FA FF015113
	v_mul_u32_u24_dpp v42, v19, v68 row_newbcast:5 row_mask:0xf bank_mask:0xf// 00000000D258: 105488FA FF015513
	v_mul_u32_u24_dpp v43, v19, v68 row_newbcast:9 row_mask:0xf bank_mask:0xf// 00000000D260: 105688FA FF015913
	v_mul_u32_u24_dpp v44, v19, v68 row_newbcast:13 row_mask:0xf bank_mask:0xf// 00000000D268: 105888FA FF015D13
	v_add_u32_e32 v33, v41, v7                                 // 00000000D270: 68420F29
	v_add_u32_e32 v34, v42, v7                                 // 00000000D274: 68440F2A
	v_add_u32_e32 v35, v43, v7                                 // 00000000D278: 68460F2B
	v_add_u32_e32 v36, v44, v7                                 // 00000000D27C: 68480F2C
	v_mul_f32_e32 v224, v63, v224                              // 00000000D280: 0BC1C13F
	v_mul_f32_e32 v225, v63, v225                              // 00000000D284: 0BC3C33F
	v_mul_f32_e32 v226, v63, v226                              // 00000000D288: 0BC5C53F
	v_mul_f32_e32 v227, v63, v227                              // 00000000D28C: 0BC7C73F
	v_mul_f32_e32 v228, v63, v228                              // 00000000D290: 0BC9C93F
	v_mul_f32_e32 v229, v63, v229                              // 00000000D294: 0BCBCB3F
	v_mul_f32_e32 v230, v63, v230                              // 00000000D298: 0BCDCD3F
	v_mul_f32_e32 v231, v63, v231                              // 00000000D29C: 0BCFCF3F
	s_waitcnt lgkmcnt(0)                                       // 00000000D2A0: BF8CC07F
	s_barrier                                                  // 00000000D2A4: BF8A0000
	ds_read_b32 v80, v10 offset:16896                          // 00000000D2A8: D86C4200 5000000A
	ds_read_b32 v81, v10 offset:16960                          // 00000000D2B0: D86C4240 5100000A
	ds_read_b32 v82, v10 offset:17024                          // 00000000D2B8: D86C4280 5200000A
	ds_read_b32 v83, v10 offset:17088                          // 00000000D2C0: D86C42C0 5300000A
	ds_read_b32 v84, v10 offset:17152                          // 00000000D2C8: D86C4300 5400000A
	ds_read_b32 v85, v10 offset:17216                          // 00000000D2D0: D86C4340 5500000A
	ds_read_b32 v86, v10 offset:17280                          // 00000000D2D8: D86C4380 5600000A
	ds_read_b32 v87, v10 offset:17344                          // 00000000D2E0: D86C43C0 5700000A
	ds_read_b32 v88, v10 offset:17408                          // 00000000D2E8: D86C4400 5800000A
	ds_read_b32 v89, v10 offset:17472                          // 00000000D2F0: D86C4440 5900000A
	ds_read_b32 v90, v10 offset:17536                          // 00000000D2F8: D86C4480 5A00000A
	ds_read_b32 v91, v10 offset:17600                          // 00000000D300: D86C44C0 5B00000A
	ds_read_b32 v92, v10 offset:17664                          // 00000000D308: D86C4500 5C00000A
	ds_read_b32 v93, v10 offset:17728                          // 00000000D310: D86C4540 5D00000A
	ds_read_b32 v94, v10 offset:17792                          // 00000000D318: D86C4580 5E00000A
	ds_read_b32 v95, v10 offset:17856                          // 00000000D320: D86C45C0 5F00000A
	buffer_load_dwordx4 a[28:31], v28, s[16:19], 0 offen offset:1024// 00000000D328: E05C1400 80841C1C
	v_cvt_f32_i32_e32 v192, v192                               // 00000000D330: 7F800BC0
	v_cvt_f32_i32_e32 v193, v193                               // 00000000D334: 7F820BC1
	v_cvt_f32_i32_e32 v194, v194                               // 00000000D338: 7F840BC2
	v_cvt_f32_i32_e32 v195, v195                               // 00000000D33C: 7F860BC3
	v_cvt_f32_i32_e32 v196, v196                               // 00000000D340: 7F880BC4
	v_cvt_f32_i32_e32 v197, v197                               // 00000000D344: 7F8A0BC5
	v_cvt_f32_i32_e32 v198, v198                               // 00000000D348: 7F8C0BC6
	v_cvt_f32_i32_e32 v199, v199                               // 00000000D34C: 7F8E0BC7
	v_mul_f32_e32 v192, v58, v192                              // 00000000D350: 0B81813A
	v_mul_f32_e32 v193, v58, v193                              // 00000000D354: 0B83833A
	v_mul_f32_e32 v194, v58, v194                              // 00000000D358: 0B85853A
	v_mul_f32_e32 v195, v58, v195                              // 00000000D35C: 0B87873A
	v_mul_f32_e32 v196, v58, v196                              // 00000000D360: 0B89893A
	v_mul_f32_e32 v197, v58, v197                              // 00000000D364: 0B8B8B3A
	v_mul_f32_e32 v198, v58, v198                              // 00000000D368: 0B8D8D3A
	v_mul_f32_e32 v199, v58, v199                              // 00000000D36C: 0B8F8F3A
	s_waitcnt lgkmcnt(0)                                       // 00000000D370: BF8CC07F
	v_max3_f32 v62, v80, v81, v62                              // 00000000D374: D1D3003E 04FAA350
	v_max3_f32 v62, v82, v83, v62                              // 00000000D37C: D1D3003E 04FAA752
	v_max3_f32 v62, v84, v85, v62                              // 00000000D384: D1D3003E 04FAAB54
	v_max3_f32 v62, v86, v87, v62                              // 00000000D38C: D1D3003E 04FAAF56
	v_max3_f32 v62, v88, v89, v62                              // 00000000D394: D1D3003E 04FAB358
	v_max3_f32 v62, v90, v91, v62                              // 00000000D39C: D1D3003E 04FAB75A
	v_max3_f32 v62, v92, v93, v62                              // 00000000D3A4: D1D3003E 04FABB5C
	v_max3_f32 v62, v94, v95, v62                              // 00000000D3AC: D1D3003E 04FABF5E
	buffer_load_dwordx4 a[64:67], v33, s[20:23], 0 offen       // 00000000D3B4: E05C1000 80854021
	v_mov_b32_e32 v41, 0xff800000                              // 00000000D3BC: 7E5202FF FF800000
	v_cmp_eq_u32_e64 s[40:41], v41, v14                        // 00000000D3C4: D0CA0028 00021D29
	s_nop 1                                                    // 00000000D3CC: BF800001
	v_max_f32_e32 v18, v62, v14                                // 00000000D3D0: 16241D3E
	v_mul_f32_e32 v67, s64, v18                                // 00000000D3D4: 0A862440
	v_fma_f32 v128, v128, s64, -v67                            // 00000000D3D8: D1CB0080 850C8180
	v_fma_f32 v129, v129, s64, -v67                            // 00000000D3E0: D1CB0081 850C8181
	v_fma_f32 v130, v130, s64, -v67                            // 00000000D3E8: D1CB0082 850C8182
	v_fma_f32 v131, v131, s64, -v67                            // 00000000D3F0: D1CB0083 850C8183
	v_fma_f32 v132, v132, s64, -v67                            // 00000000D3F8: D1CB0084 850C8184
	v_fma_f32 v133, v133, s64, -v67                            // 00000000D400: D1CB0085 850C8185
	v_fma_f32 v134, v134, s64, -v67                            // 00000000D408: D1CB0086 850C8186
	v_fma_f32 v135, v135, s64, -v67                            // 00000000D410: D1CB0087 850C8187
	v_fma_f32 v136, v136, s64, -v67                            // 00000000D418: D1CB0088 850C8188
	v_fma_f32 v137, v137, s64, -v67                            // 00000000D420: D1CB0089 850C8189
	v_fma_f32 v138, v138, s64, -v67                            // 00000000D428: D1CB008A 850C818A
	v_fma_f32 v139, v139, s64, -v67                            // 00000000D430: D1CB008B 850C818B
	v_fma_f32 v140, v140, s64, -v67                            // 00000000D438: D1CB008C 850C818C
	v_fma_f32 v141, v141, s64, -v67                            // 00000000D440: D1CB008D 850C818D
	v_fma_f32 v142, v142, s64, -v67                            // 00000000D448: D1CB008E 850C818E
	v_fma_f32 v143, v143, s64, -v67                            // 00000000D450: D1CB008F 850C818F
	buffer_load_dwordx4 a[68:71], v34, s[20:23], 0 offen       // 00000000D458: E05C1000 80854422
	v_exp_f32_e32 v128, v128                                   // 00000000D460: 7F004180
	v_exp_f32_e32 v129, v129                                   // 00000000D464: 7F024181
	v_exp_f32_e32 v130, v130                                   // 00000000D468: 7F044182
	v_exp_f32_e32 v131, v131                                   // 00000000D46C: 7F064183
	v_exp_f32_e32 v132, v132                                   // 00000000D470: 7F084184
	v_exp_f32_e32 v133, v133                                   // 00000000D474: 7F0A4185
	v_exp_f32_e32 v134, v134                                   // 00000000D478: 7F0C4186
	v_exp_f32_e32 v135, v135                                   // 00000000D47C: 7F0E4187
	v_exp_f32_e32 v136, v136                                   // 00000000D480: 7F104188
	v_exp_f32_e32 v137, v137                                   // 00000000D484: 7F124189
	v_exp_f32_e32 v138, v138                                   // 00000000D488: 7F14418A
	v_exp_f32_e32 v139, v139                                   // 00000000D48C: 7F16418B
	v_exp_f32_e32 v140, v140                                   // 00000000D490: 7F18418C
	v_exp_f32_e32 v141, v141                                   // 00000000D494: 7F1A418D
	v_exp_f32_e32 v142, v142                                   // 00000000D498: 7F1C418E
	v_exp_f32_e32 v143, v143                                   // 00000000D49C: 7F1E418F
	buffer_load_dwordx4 a[72:75], v35, s[20:23], 0 offen       // 00000000D4A0: E05C1000 80854823
	v_mul_f32_dpp v240, v252, v128 quad_perm:[0,0,0,0] row_mask:0xf bank_mask:0xf// 00000000D4A8: 0BE100FA FF0000FC
	v_mul_f32_dpp v241, v252, v129 quad_perm:[1,1,1,1] row_mask:0xf bank_mask:0xf// 00000000D4B0: 0BE302FA FF0055FC
	v_mul_f32_dpp v242, v252, v130 quad_perm:[2,2,2,2] row_mask:0xf bank_mask:0xf// 00000000D4B8: 0BE504FA FF00AAFC
	v_mul_f32_dpp v243, v252, v131 quad_perm:[3,3,3,3] row_mask:0xf bank_mask:0xf// 00000000D4C0: 0BE706FA FF00FFFC
	v_mul_f32_dpp v244, v253, v132 quad_perm:[0,0,0,0] row_mask:0xf bank_mask:0xf// 00000000D4C8: 0BE908FA FF0000FD
	v_mul_f32_dpp v245, v253, v133 quad_perm:[1,1,1,1] row_mask:0xf bank_mask:0xf// 00000000D4D0: 0BEB0AFA FF0055FD
	v_mul_f32_dpp v246, v253, v134 quad_perm:[2,2,2,2] row_mask:0xf bank_mask:0xf// 00000000D4D8: 0BED0CFA FF00AAFD
	v_mul_f32_dpp v247, v253, v135 quad_perm:[3,3,3,3] row_mask:0xf bank_mask:0xf// 00000000D4E0: 0BEF0EFA FF00FFFD
	v_mul_f32_dpp v248, v254, v136 quad_perm:[0,0,0,0] row_mask:0xf bank_mask:0xf// 00000000D4E8: 0BF110FA FF0000FE
	v_mul_f32_dpp v249, v254, v137 quad_perm:[1,1,1,1] row_mask:0xf bank_mask:0xf// 00000000D4F0: 0BF312FA FF0055FE
	v_mul_f32_dpp v250, v254, v138 quad_perm:[2,2,2,2] row_mask:0xf bank_mask:0xf// 00000000D4F8: 0BF514FA FF00AAFE
	v_mul_f32_dpp v251, v254, v139 quad_perm:[3,3,3,3] row_mask:0xf bank_mask:0xf// 00000000D500: 0BF716FA FF00FFFE
	v_mul_f32_dpp v252, v255, v140 quad_perm:[0,0,0,0] row_mask:0xf bank_mask:0xf// 00000000D508: 0BF918FA FF0000FF
	v_mul_f32_dpp v253, v255, v141 quad_perm:[1,1,1,1] row_mask:0xf bank_mask:0xf// 00000000D510: 0BFB1AFA FF0055FF
	v_mul_f32_dpp v254, v255, v142 quad_perm:[2,2,2,2] row_mask:0xf bank_mask:0xf// 00000000D518: 0BFD1CFA FF00AAFF
	v_mul_f32_dpp v255, v255, v143 quad_perm:[3,3,3,3] row_mask:0xf bank_mask:0xf// 00000000D520: 0BFF1EFA FF00FFFF
	v_mov_b32_e32 v62, 0x358637bd                              // 00000000D528: 7E7C02FF 358637BD
	v_max3_f32 v62, |v240|, |v241|, v62                        // 00000000D530: D1D3033E 04FBE3F0
	v_max3_f32 v62, |v242|, |v243|, v62                        // 00000000D538: D1D3033E 04FBE7F2
	v_max3_f32 v62, |v244|, |v245|, v62                        // 00000000D540: D1D3033E 04FBEBF4
	v_max3_f32 v62, |v246|, |v247|, v62                        // 00000000D548: D1D3033E 04FBEFF6
	v_max3_f32 v62, |v248|, |v249|, v62                        // 00000000D550: D1D3033E 04FBF3F8
	v_max3_f32 v62, |v250|, |v251|, v62                        // 00000000D558: D1D3033E 04FBF7FA
	v_max3_f32 v62, |v252|, |v253|, v62                        // 00000000D560: D1D3033E 04FBFBFC
	v_max3_f32 v62, |v254|, |v255|, v62                        // 00000000D568: D1D3033E 04FBFFFE
	buffer_load_dwordx4 a[76:79], v36, s[20:23], 0 offen       // 00000000D570: E05C1000 80854C24
	ds_write_b32 v11, v62 offset:20992                         // 00000000D578: D81A5200 00003E0B
	v_sub_f32_e32 v63, v14, v18                                // 00000000D580: 047E250E
	v_cndmask_b32_e64 v63, v63, 0, s[40:41]                    // 00000000D584: D100003F 00A1013F
	v_mov_b32_e32 v14, v18                                     // 00000000D58C: 7E1C0312
	v_mul_f32_e32 v63, s64, v63                                // 00000000D590: 0A7E7E40
	v_exp_f32_e32 v63, v63                                     // 00000000D594: 7E7E413F
	s_waitcnt lgkmcnt(0)                                       // 00000000D598: BF8CC07F
	s_barrier                                                  // 00000000D59C: BF8A0000
	ds_read_b32 v80, v10 offset:20992                          // 00000000D5A0: D86C5200 5000000A
	ds_read_b32 v81, v10 offset:21056                          // 00000000D5A8: D86C5240 5100000A
	ds_read_b32 v82, v10 offset:21120                          // 00000000D5B0: D86C5280 5200000A
	ds_read_b32 v83, v10 offset:21184                          // 00000000D5B8: D86C52C0 5300000A
	ds_read_b32 v84, v10 offset:21248                          // 00000000D5C0: D86C5300 5400000A
	ds_read_b32 v85, v10 offset:21312                          // 00000000D5C8: D86C5340 5500000A
	ds_read_b32 v86, v10 offset:21376                          // 00000000D5D0: D86C5380 5600000A
	ds_read_b32 v87, v10 offset:21440                          // 00000000D5D8: D86C53C0 5700000A
	ds_read_b32 v88, v10 offset:21504                          // 00000000D5E0: D86C5400 5800000A
	ds_read_b32 v89, v10 offset:21568                          // 00000000D5E8: D86C5440 5900000A
	ds_read_b32 v90, v10 offset:21632                          // 00000000D5F0: D86C5480 5A00000A
	ds_read_b32 v91, v10 offset:21696                          // 00000000D5F8: D86C54C0 5B00000A
	ds_read_b32 v92, v10 offset:21760                          // 00000000D600: D86C5500 5C00000A
	ds_read_b32 v93, v10 offset:21824                          // 00000000D608: D86C5540 5D00000A
	ds_read_b32 v94, v10 offset:21888                          // 00000000D610: D86C5580 5E00000A
	ds_read_b32 v95, v10 offset:21952                          // 00000000D618: D86C55C0 5F00000A
	v_mul_f32_e32 v47, v63, v47                                // 00000000D620: 0A5E5F3F
	v_mov_b32_e32 v18, v128                                    // 00000000D624: 7E240380
	v_add_f32_e32 v18, v129, v18                               // 00000000D628: 02242581
	v_add_f32_e32 v18, v130, v18                               // 00000000D62C: 02242582
	v_add_f32_e32 v18, v131, v18                               // 00000000D630: 02242583
	v_add_f32_e32 v18, v132, v18                               // 00000000D634: 02242584
	v_add_f32_e32 v18, v133, v18                               // 00000000D638: 02242585
	v_add_f32_e32 v18, v134, v18                               // 00000000D63C: 02242586
	v_add_f32_e32 v18, v135, v18                               // 00000000D640: 02242587
	v_add_f32_e32 v18, v136, v18                               // 00000000D644: 02242588
	v_add_f32_e32 v18, v137, v18                               // 00000000D648: 02242589
	v_add_f32_e32 v18, v138, v18                               // 00000000D64C: 0224258A
	v_add_f32_e32 v18, v139, v18                               // 00000000D650: 0224258B
	v_add_f32_e32 v18, v140, v18                               // 00000000D654: 0224258C
	v_add_f32_e32 v18, v141, v18                               // 00000000D658: 0224258D
	v_add_f32_e32 v18, v142, v18                               // 00000000D65C: 0224258E
	v_add_f32_e32 v18, v143, v18                               // 00000000D660: 0224258F
	v_add_f32_e32 v47, v18, v47                                // 00000000D664: 025E5F12
	s_waitcnt lgkmcnt(0)                                       // 00000000D668: BF8CC07F
	v_max3_f32 v62, |v80|, |v81|, v62                          // 00000000D66C: D1D3033E 04FAA350
	v_max3_f32 v62, |v82|, |v83|, v62                          // 00000000D674: D1D3033E 04FAA752
	v_max3_f32 v62, |v84|, |v85|, v62                          // 00000000D67C: D1D3033E 04FAAB54
	v_max3_f32 v62, |v86|, |v87|, v62                          // 00000000D684: D1D3033E 04FAAF56
	v_max3_f32 v62, |v88|, |v89|, v62                          // 00000000D68C: D1D3033E 04FAB358
	v_max3_f32 v62, |v90|, |v91|, v62                          // 00000000D694: D1D3033E 04FAB75A
	v_max3_f32 v62, |v92|, |v93|, v62                          // 00000000D69C: D1D3033E 04FABB5C
	v_max3_f32 v62, |v94|, |v95|, v62                          // 00000000D6A4: D1D3033E 04FABF5E
	s_nop 2                                                    // 00000000D6AC: BF800002
	v_rcp_f32_e32 v62, v62                                     // 00000000D6B0: 7E7C453E
	s_nop 1                                                    // 00000000D6B4: BF800001
	v_mul_f32_e32 v62, 0x42fe0000, v62                         // 00000000D6B8: 0A7C7CFF 42FE0000
	v_mul_f32_e32 v128, v62, v240                              // 00000000D6C0: 0B01E13E
	v_mul_f32_e32 v129, v62, v241                              // 00000000D6C4: 0B03E33E
	v_mul_f32_e32 v130, v62, v242                              // 00000000D6C8: 0B05E53E
	v_mul_f32_e32 v131, v62, v243                              // 00000000D6CC: 0B07E73E
	v_mul_f32_e32 v132, v62, v244                              // 00000000D6D0: 0B09E93E
	v_mul_f32_e32 v133, v62, v245                              // 00000000D6D4: 0B0BEB3E
	v_mul_f32_e32 v134, v62, v246                              // 00000000D6D8: 0B0DED3E
	v_mul_f32_e32 v135, v62, v247                              // 00000000D6DC: 0B0FEF3E
	v_mul_f32_e32 v136, v62, v248                              // 00000000D6E0: 0B11F13E
	v_mul_f32_e32 v137, v62, v249                              // 00000000D6E4: 0B13F33E
	v_mul_f32_e32 v138, v62, v250                              // 00000000D6E8: 0B15F53E
	v_mul_f32_e32 v139, v62, v251                              // 00000000D6EC: 0B17F73E
	v_mul_f32_e32 v140, v62, v252                              // 00000000D6F0: 0B19F93E
	v_mul_f32_e32 v141, v62, v253                              // 00000000D6F4: 0B1BFB3E
	v_mul_f32_e32 v142, v62, v254                              // 00000000D6F8: 0B1DFD3E
	v_mul_f32_e32 v143, v62, v255                              // 00000000D6FC: 0B1FFF3E
	v_cvt_i32_f32_e32 v128, v128                               // 00000000D700: 7F001180
	v_cvt_i32_f32_e32 v129, v129                               // 00000000D704: 7F021181
	v_cvt_i32_f32_e32 v130, v130                               // 00000000D708: 7F041182
	v_cvt_i32_f32_e32 v131, v131                               // 00000000D70C: 7F061183
	v_cvt_i32_f32_e32 v132, v132                               // 00000000D710: 7F081184
	v_cvt_i32_f32_e32 v133, v133                               // 00000000D714: 7F0A1185
	v_cvt_i32_f32_e32 v134, v134                               // 00000000D718: 7F0C1186
	v_cvt_i32_f32_e32 v135, v135                               // 00000000D71C: 7F0E1187
	v_cvt_i32_f32_e32 v136, v136                               // 00000000D720: 7F101188
	v_cvt_i32_f32_e32 v137, v137                               // 00000000D724: 7F121189
	v_cvt_i32_f32_e32 v138, v138                               // 00000000D728: 7F14118A
	v_cvt_i32_f32_e32 v139, v139                               // 00000000D72C: 7F16118B
	v_cvt_i32_f32_e32 v140, v140                               // 00000000D730: 7F18118C
	v_cvt_i32_f32_e32 v141, v141                               // 00000000D734: 7F1A118D
	v_cvt_i32_f32_e32 v142, v142                               // 00000000D738: 7F1C118E
	v_cvt_i32_f32_e32 v143, v143                               // 00000000D73C: 7F1E118F
	v_perm_b32 v128, v129, v128, s53                           // 00000000D740: D1ED0080 00D70181
	v_perm_b32 v128, v130, v128, s54                           // 00000000D748: D1ED0080 00DB0182
	v_perm_b32 v128, v131, v128, s55                           // 00000000D750: D1ED0080 00DF0183
	v_perm_b32 v129, v133, v132, s53                           // 00000000D758: D1ED0081 00D70985
	v_perm_b32 v129, v134, v129, s54                           // 00000000D760: D1ED0081 00DB0386
	v_perm_b32 v129, v135, v129, s55                           // 00000000D768: D1ED0081 00DF0387
	v_perm_b32 v130, v137, v136, s53                           // 00000000D770: D1ED0082 00D71189
	v_perm_b32 v130, v138, v130, s54                           // 00000000D778: D1ED0082 00DB058A
	v_perm_b32 v130, v139, v130, s55                           // 00000000D780: D1ED0082 00DF058B
	v_perm_b32 v131, v141, v140, s53                           // 00000000D788: D1ED0083 00D7198D
	v_perm_b32 v131, v142, v131, s54                           // 00000000D790: D1ED0083 00DB078E
	v_perm_b32 v131, v143, v131, s55                           // 00000000D798: D1ED0083 00DF078F
	ds_write_b32 v13, v128 offset:25088                        // 00000000D7A0: D81A6200 0000800D
	ds_write_b32 v13, v129 offset:26112                        // 00000000D7A8: D81A6600 0000810D
	ds_write_b32 v13, v130 offset:27136                        // 00000000D7B0: D81A6A00 0000820D
	ds_write_b32 v13, v131 offset:28160                        // 00000000D7B8: D81A6E00 0000830D
	v_add_f32_e32 v224, v224, v192                             // 00000000D7C0: 03C181E0
	v_add_f32_e32 v225, v225, v193                             // 00000000D7C4: 03C383E1
	v_add_f32_e32 v226, v226, v194                             // 00000000D7C8: 03C585E2
	v_add_f32_e32 v227, v227, v195                             // 00000000D7CC: 03C787E3
	v_add_f32_e32 v228, v228, v196                             // 00000000D7D0: 03C989E4
	v_add_f32_e32 v229, v229, v197                             // 00000000D7D4: 03CB8BE5
	v_add_f32_e32 v230, v230, v198                             // 00000000D7D8: 03CD8DE6
	v_add_f32_e32 v231, v231, v199                             // 00000000D7DC: 03CF8FE7
	v_rcp_f32_e32 v58, v62                                     // 00000000D7E0: 7E74453E
	s_waitcnt lgkmcnt(0)                                       // 00000000D7E4: BF8CC07F
	s_barrier                                                  // 00000000D7E8: BF8A0000
	ds_read_b64 v[128:129], v12 offset:25088                   // 00000000D7EC: D8EC6200 8000000C
	ds_read_b64 v[130:131], v12 offset:25216                   // 00000000D7F4: D8EC6280 8200000C
	ds_read_b64 v[132:133], v12 offset:26112                   // 00000000D7FC: D8EC6600 8400000C
	ds_read_b64 v[134:135], v12 offset:26240                   // 00000000D804: D8EC6680 8600000C
	ds_read_b64 v[136:137], v12 offset:27136                   // 00000000D80C: D8EC6A00 8800000C
	ds_read_b64 v[138:139], v12 offset:27264                   // 00000000D814: D8EC6A80 8A00000C
	ds_read_b64 v[140:141], v12 offset:28160                   // 00000000D81C: D8EC6E00 8C00000C
	ds_read_b64 v[142:143], v12 offset:28288                   // 00000000D824: D8EC6E80 8E00000C
	v_mov_b32_dpp v41, v53 row_shr:4 row_mask:0xf bank_mask:0xf// 00000000D82C: 7E5202FA FF011435
	v_mov_b32_dpp v42, v53 row_shl:4 row_mask:0xf bank_mask:0xf// 00000000D834: 7E5402FA FF010435
	v_cndmask_b32_e64 v248, v53, v41, s[44:45]                 // 00000000D83C: D10000F8 00B25335
	v_cndmask_b32_e64 v249, v42, v53, s[44:45]                 // 00000000D844: D10000F9 00B26B2A
	v_mov_b32_dpp v41, v248 row_shr:8 row_mask:0xf bank_mask:0xf// 00000000D84C: 7E5202FA FF0118F8
	v_mov_b32_dpp v42, v248 row_shl:8 row_mask:0xf bank_mask:0xf// 00000000D854: 7E5402FA FF0108F8
	v_mov_b32_dpp v43, v249 row_shr:8 row_mask:0xf bank_mask:0xf// 00000000D85C: 7E5602FA FF0118F9
	v_mov_b32_dpp v44, v249 row_shl:8 row_mask:0xf bank_mask:0xf// 00000000D864: 7E5802FA FF0108F9
	v_mov_b32_e32 v45, v248                                    // 00000000D86C: 7E5A03F8
	v_mov_b32_e32 v46, v249                                    // 00000000D870: 7E5C03F9
	v_cndmask_b32_e64 v248, v45, v41, s[42:43]                 // 00000000D874: D10000F8 00AA532D
	v_cndmask_b32_e64 v250, v45, v42, s[78:79]                 // 00000000D87C: D10000FA 013A552D
	v_cndmask_b32_e64 v249, v46, v43, s[42:43]                 // 00000000D884: D10000F9 00AA572E
	v_cndmask_b32_e64 v251, v46, v44, s[78:79]                 // 00000000D88C: D10000FB 013A592E
	v_mov_b32_dpp v41, v73 row_shr:4 row_mask:0xf bank_mask:0xf// 00000000D894: 7E5202FA FF011449
	v_mov_b32_dpp v42, v73 row_shl:4 row_mask:0xf bank_mask:0xf// 00000000D89C: 7E5402FA FF010449
	v_cndmask_b32_e64 v252, v73, v41, s[44:45]                 // 00000000D8A4: D10000FC 00B25349
	v_cndmask_b32_e64 v253, v42, v73, s[44:45]                 // 00000000D8AC: D10000FD 00B2932A
	v_mov_b32_dpp v41, v252 row_shr:8 row_mask:0xf bank_mask:0xf// 00000000D8B4: 7E5202FA FF0118FC
	v_mov_b32_dpp v42, v252 row_shl:8 row_mask:0xf bank_mask:0xf// 00000000D8BC: 7E5402FA FF0108FC
	v_mov_b32_dpp v43, v253 row_shr:8 row_mask:0xf bank_mask:0xf// 00000000D8C4: 7E5602FA FF0118FD
	v_mov_b32_dpp v44, v253 row_shl:8 row_mask:0xf bank_mask:0xf// 00000000D8CC: 7E5802FA FF0108FD
	v_mov_b32_e32 v45, v252                                    // 00000000D8D4: 7E5A03FC
	v_mov_b32_e32 v46, v253                                    // 00000000D8D8: 7E5C03FD
	v_cndmask_b32_e64 v252, v45, v41, s[42:43]                 // 00000000D8DC: D10000FC 00AA532D
	v_cndmask_b32_e64 v254, v45, v42, s[78:79]                 // 00000000D8E4: D10000FE 013A552D
	v_cndmask_b32_e64 v253, v46, v43, s[42:43]                 // 00000000D8EC: D10000FD 00AA572E
	v_cndmask_b32_e64 v255, v46, v44, s[78:79]                 // 00000000D8F4: D10000FF 013A592E
	v_cvt_f32_i32_e32 v144, v144                               // 00000000D8FC: 7F200B90
	v_cvt_f32_i32_e32 v145, v145                               // 00000000D900: 7F220B91
	v_cvt_f32_i32_e32 v146, v146                               // 00000000D904: 7F240B92
	v_cvt_f32_i32_e32 v147, v147                               // 00000000D908: 7F260B93
	v_cvt_f32_i32_e32 v148, v148                               // 00000000D90C: 7F280B94
	v_cvt_f32_i32_e32 v149, v149                               // 00000000D910: 7F2A0B95
	v_cvt_f32_i32_e32 v150, v150                               // 00000000D914: 7F2C0B96
	v_cvt_f32_i32_e32 v151, v151                               // 00000000D918: 7F2E0B97
	v_cvt_f32_i32_e32 v152, v152                               // 00000000D91C: 7F300B98
	v_cvt_f32_i32_e32 v153, v153                               // 00000000D920: 7F320B99
	v_cvt_f32_i32_e32 v154, v154                               // 00000000D924: 7F340B9A
	v_cvt_f32_i32_e32 v155, v155                               // 00000000D928: 7F360B9B
	v_cvt_f32_i32_e32 v156, v156                               // 00000000D92C: 7F380B9C
	v_cvt_f32_i32_e32 v157, v157                               // 00000000D930: 7F3A0B9D
	v_cvt_f32_i32_e32 v158, v158                               // 00000000D934: 7F3C0B9E
	v_cvt_f32_i32_e32 v159, v159                               // 00000000D938: 7F3E0B9F
	v_mul_f32_e32 v144, v55, v144                              // 00000000D93C: 0B212137
	v_mul_f32_e32 v145, v55, v145                              // 00000000D940: 0B232337
	v_mul_f32_e32 v146, v55, v146                              // 00000000D944: 0B252537
	v_mul_f32_e32 v147, v55, v147                              // 00000000D948: 0B272737
	v_mul_f32_e32 v148, v55, v148                              // 00000000D94C: 0B292937
	v_mul_f32_e32 v149, v55, v149                              // 00000000D950: 0B2B2B37
	v_mul_f32_e32 v150, v55, v150                              // 00000000D954: 0B2D2D37
	v_mul_f32_e32 v151, v55, v151                              // 00000000D958: 0B2F2F37
	v_mul_f32_e32 v152, v55, v152                              // 00000000D95C: 0B313137
	v_mul_f32_e32 v153, v55, v153                              // 00000000D960: 0B333337
	v_mul_f32_e32 v154, v55, v154                              // 00000000D964: 0B353537
	v_mul_f32_e32 v155, v55, v155                              // 00000000D968: 0B373737
	v_mul_f32_e32 v156, v55, v156                              // 00000000D96C: 0B393937
	v_mul_f32_e32 v157, v55, v157                              // 00000000D970: 0B3B3B37
	v_mul_f32_e32 v158, v55, v158                              // 00000000D974: 0B3D3D37
	v_mul_f32_e32 v159, v55, v159                              // 00000000D978: 0B3F3F37
	v_mul_f32_dpp v144, v248, v144 quad_perm:[0,0,0,0] row_mask:0xf bank_mask:0xf// 00000000D97C: 0B2120FA FF0000F8
	v_mul_f32_dpp v145, v248, v145 quad_perm:[1,1,1,1] row_mask:0xf bank_mask:0xf// 00000000D984: 0B2322FA FF0055F8
	v_mul_f32_dpp v146, v248, v146 quad_perm:[2,2,2,2] row_mask:0xf bank_mask:0xf// 00000000D98C: 0B2524FA FF00AAF8
	v_mul_f32_dpp v147, v248, v147 quad_perm:[3,3,3,3] row_mask:0xf bank_mask:0xf// 00000000D994: 0B2726FA FF00FFF8
	v_mul_f32_dpp v148, v249, v148 quad_perm:[0,0,0,0] row_mask:0xf bank_mask:0xf// 00000000D99C: 0B2928FA FF0000F9
	v_mul_f32_dpp v149, v249, v149 quad_perm:[1,1,1,1] row_mask:0xf bank_mask:0xf// 00000000D9A4: 0B2B2AFA FF0055F9
	v_mul_f32_dpp v150, v249, v150 quad_perm:[2,2,2,2] row_mask:0xf bank_mask:0xf// 00000000D9AC: 0B2D2CFA FF00AAF9
	v_mul_f32_dpp v151, v249, v151 quad_perm:[3,3,3,3] row_mask:0xf bank_mask:0xf// 00000000D9B4: 0B2F2EFA FF00FFF9
	v_mul_f32_dpp v152, v250, v152 quad_perm:[0,0,0,0] row_mask:0xf bank_mask:0xf// 00000000D9BC: 0B3130FA FF0000FA
	v_mul_f32_dpp v153, v250, v153 quad_perm:[1,1,1,1] row_mask:0xf bank_mask:0xf// 00000000D9C4: 0B3332FA FF0055FA
	v_mul_f32_dpp v154, v250, v154 quad_perm:[2,2,2,2] row_mask:0xf bank_mask:0xf// 00000000D9CC: 0B3534FA FF00AAFA
	v_mul_f32_dpp v155, v250, v155 quad_perm:[3,3,3,3] row_mask:0xf bank_mask:0xf// 00000000D9D4: 0B3736FA FF00FFFA
	v_mul_f32_dpp v156, v251, v156 quad_perm:[0,0,0,0] row_mask:0xf bank_mask:0xf// 00000000D9DC: 0B3938FA FF0000FB
	v_mul_f32_dpp v157, v251, v157 quad_perm:[1,1,1,1] row_mask:0xf bank_mask:0xf// 00000000D9E4: 0B3B3AFA FF0055FB
	v_mul_f32_dpp v158, v251, v158 quad_perm:[2,2,2,2] row_mask:0xf bank_mask:0xf// 00000000D9EC: 0B3D3CFA FF00AAFB
	v_mul_f32_dpp v159, v251, v159 quad_perm:[3,3,3,3] row_mask:0xf bank_mask:0xf// 00000000D9F4: 0B3F3EFA FF00FFFB
	s_cmp_le_i32 s90, s89                                      // 00000000D9FC: BF05595A
	s_cbranch_scc1 label_2E74                                  // 00000000DA00: BF850073
	v_mov_b32_e32 v69, 0xff800000                              // 00000000DA04: 7E8A02FF FF800000
	s_mov_b32 s60, s90                                         // 00000000DA0C: BEBC005A
	s_add_u32 s61, s89, 0xff                                   // 00000000DA10: 803DFF59 000000FF
	v_mov_b32_e32 v41, s61                                     // 00000000DA18: 7E52023D
	v_lshrrev_b32_e32 v240, 4, v0                              // 00000000DA1C: 21E00084
	v_mul_i32_i24_e32 v240, 4, v240                            // 00000000DA20: 0DE1E084
	v_add_u32_e32 v240, s60, v240                              // 00000000DA24: 69E1E03C
	v_and_b32_e32 v42, 15, v0                                  // 00000000DA28: 2654008F
	v_lshrrev_b32_e32 v42, 3, v42                              // 00000000DA2C: 20545483
	s_mov_b32 s61, 2                                           // 00000000DA30: BEBD0082
	s_mul_i32 s60, 16, s7                                      // 00000000DA34: 923C0790
	v_add_u32_e32 v42, s61, v42                                // 00000000DA38: 6854543D
	v_sub_u32_e32 v240, v240, v42                              // 00000000DA3C: 6BE055F0
	v_add_u32_e32 v240, s60, v240                              // 00000000DA40: 69E1E03C
	v_add_u32_e32 v241, 1, v240                                // 00000000DA44: 69E3E081
	v_add_u32_e32 v242, 2, v240                                // 00000000DA48: 69E5E082
	v_add_u32_e32 v243, 3, v240                                // 00000000DA4C: 69E7E083
	v_cmp_le_u32_e64 s[40:41], v240, v41                       // 00000000DA50: D0CB0028 000253F0
	v_add_u32_e32 v240, 64, v240                               // 00000000DA58: 69E1E0C0
	s_nop 0                                                    // 00000000DA5C: BF800000
	v_cndmask_b32_e64 v144, v69, v144, s[40:41]                // 00000000DA60: D1000090 00A32145
	v_cmp_le_u32_e64 s[40:41], v241, v41                       // 00000000DA68: D0CB0028 000253F1
	v_add_u32_e32 v241, 64, v241                               // 00000000DA70: 69E3E2C0
	s_nop 0                                                    // 00000000DA74: BF800000
	v_cndmask_b32_e64 v145, v69, v145, s[40:41]                // 00000000DA78: D1000091 00A32345
	v_cmp_le_u32_e64 s[40:41], v242, v41                       // 00000000DA80: D0CB0028 000253F2
	v_add_u32_e32 v242, 64, v242                               // 00000000DA88: 69E5E4C0
	s_nop 0                                                    // 00000000DA8C: BF800000
	v_cndmask_b32_e64 v146, v69, v146, s[40:41]                // 00000000DA90: D1000092 00A32545
	v_cmp_le_u32_e64 s[40:41], v243, v41                       // 00000000DA98: D0CB0028 000253F3
	v_add_u32_e32 v243, 64, v243                               // 00000000DAA0: 69E7E6C0
	s_nop 0                                                    // 00000000DAA4: BF800000
	v_cndmask_b32_e64 v147, v69, v147, s[40:41]                // 00000000DAA8: D1000093 00A32745
	v_cmp_le_u32_e64 s[40:41], v240, v41                       // 00000000DAB0: D0CB0028 000253F0
	v_add_u32_e32 v240, 64, v240                               // 00000000DAB8: 69E1E0C0
	s_nop 0                                                    // 00000000DABC: BF800000
	v_cndmask_b32_e64 v148, v69, v148, s[40:41]                // 00000000DAC0: D1000094 00A32945
	v_cmp_le_u32_e64 s[40:41], v241, v41                       // 00000000DAC8: D0CB0028 000253F1
	v_add_u32_e32 v241, 64, v241                               // 00000000DAD0: 69E3E2C0
	s_nop 0                                                    // 00000000DAD4: BF800000
	v_cndmask_b32_e64 v149, v69, v149, s[40:41]                // 00000000DAD8: D1000095 00A32B45
	v_cmp_le_u32_e64 s[40:41], v242, v41                       // 00000000DAE0: D0CB0028 000253F2
	v_add_u32_e32 v242, 64, v242                               // 00000000DAE8: 69E5E4C0
	s_nop 0                                                    // 00000000DAEC: BF800000
	v_cndmask_b32_e64 v150, v69, v150, s[40:41]                // 00000000DAF0: D1000096 00A32D45
	v_cmp_le_u32_e64 s[40:41], v243, v41                       // 00000000DAF8: D0CB0028 000253F3
	v_add_u32_e32 v243, 64, v243                               // 00000000DB00: 69E7E6C0
	s_nop 0                                                    // 00000000DB04: BF800000
	v_cndmask_b32_e64 v151, v69, v151, s[40:41]                // 00000000DB08: D1000097 00A32F45
	v_cmp_le_u32_e64 s[40:41], v240, v41                       // 00000000DB10: D0CB0028 000253F0
	v_add_u32_e32 v240, 64, v240                               // 00000000DB18: 69E1E0C0
	s_nop 0                                                    // 00000000DB1C: BF800000
	v_cndmask_b32_e64 v152, v69, v152, s[40:41]                // 00000000DB20: D1000098 00A33145
	v_cmp_le_u32_e64 s[40:41], v241, v41                       // 00000000DB28: D0CB0028 000253F1
	v_add_u32_e32 v241, 64, v241                               // 00000000DB30: 69E3E2C0
	s_nop 0                                                    // 00000000DB34: BF800000
	v_cndmask_b32_e64 v153, v69, v153, s[40:41]                // 00000000DB38: D1000099 00A33345
	v_cmp_le_u32_e64 s[40:41], v242, v41                       // 00000000DB40: D0CB0028 000253F2
	v_add_u32_e32 v242, 64, v242                               // 00000000DB48: 69E5E4C0
	s_nop 0                                                    // 00000000DB4C: BF800000
	v_cndmask_b32_e64 v154, v69, v154, s[40:41]                // 00000000DB50: D100009A 00A33545
	v_cmp_le_u32_e64 s[40:41], v243, v41                       // 00000000DB58: D0CB0028 000253F3
	v_add_u32_e32 v243, 64, v243                               // 00000000DB60: 69E7E6C0
	s_nop 0                                                    // 00000000DB64: BF800000
	v_cndmask_b32_e64 v155, v69, v155, s[40:41]                // 00000000DB68: D100009B 00A33745
	v_cmp_le_u32_e64 s[40:41], v240, v41                       // 00000000DB70: D0CB0028 000253F0
	v_add_u32_e32 v240, 64, v240                               // 00000000DB78: 69E1E0C0
	s_nop 0                                                    // 00000000DB7C: BF800000
	v_cndmask_b32_e64 v156, v69, v156, s[40:41]                // 00000000DB80: D100009C 00A33945
	v_cmp_le_u32_e64 s[40:41], v241, v41                       // 00000000DB88: D0CB0028 000253F1
	v_add_u32_e32 v241, 64, v241                               // 00000000DB90: 69E3E2C0
	s_nop 0                                                    // 00000000DB94: BF800000
	v_cndmask_b32_e64 v157, v69, v157, s[40:41]                // 00000000DB98: D100009D 00A33B45
	v_cmp_le_u32_e64 s[40:41], v242, v41                       // 00000000DBA0: D0CB0028 000253F2
	v_add_u32_e32 v242, 64, v242                               // 00000000DBA8: 69E5E4C0
	s_nop 0                                                    // 00000000DBAC: BF800000
	v_cndmask_b32_e64 v158, v69, v158, s[40:41]                // 00000000DBB0: D100009E 00A33D45
	v_cmp_le_u32_e64 s[40:41], v243, v41                       // 00000000DBB8: D0CB0028 000253F3
	v_add_u32_e32 v243, 64, v243                               // 00000000DBC0: 69E7E6C0
	s_nop 0                                                    // 00000000DBC4: BF800000
	v_cndmask_b32_e64 v159, v69, v159, s[40:41]                // 00000000DBC8: D100009F 00A33F45

000000000000dbd0 <label_2E74>:
	s_add_u32 s90, s91, s90                                    // 00000000DBD0: 805A5A5B
	v_mov_b32_e32 v62, v144                                    // 00000000DBD4: 7E7C0390
	v_max3_f32 v62, v144, v145, v62                            // 00000000DBD8: D1D3003E 04FB2390
	v_max3_f32 v62, v146, v147, v62                            // 00000000DBE0: D1D3003E 04FB2792
	v_max3_f32 v62, v148, v149, v62                            // 00000000DBE8: D1D3003E 04FB2B94
	v_max3_f32 v62, v150, v151, v62                            // 00000000DBF0: D1D3003E 04FB2F96
	v_max3_f32 v62, v152, v153, v62                            // 00000000DBF8: D1D3003E 04FB3398
	v_max3_f32 v62, v154, v155, v62                            // 00000000DC00: D1D3003E 04FB379A
	v_max3_f32 v62, v156, v157, v62                            // 00000000DC08: D1D3003E 04FB3B9C
	v_max3_f32 v62, v158, v159, v62                            // 00000000DC10: D1D3003E 04FB3F9E
	ds_write_b32 v11, v62 offset:16896                         // 00000000DC18: D81A4200 00003E0B
	v_mul_f32_e32 v232, v64, v232                              // 00000000DC20: 0BD1D140
	v_mul_f32_e32 v233, v64, v233                              // 00000000DC24: 0BD3D340
	v_mul_f32_e32 v234, v64, v234                              // 00000000DC28: 0BD5D540
	v_mul_f32_e32 v235, v64, v235                              // 00000000DC2C: 0BD7D740
	v_mul_f32_e32 v236, v64, v236                              // 00000000DC30: 0BD9D940
	v_mul_f32_e32 v237, v64, v237                              // 00000000DC34: 0BDBDB40
	v_mul_f32_e32 v238, v64, v238                              // 00000000DC38: 0BDDDD40
	v_mul_f32_e32 v239, v64, v239                              // 00000000DC3C: 0BDFDF40
	s_waitcnt lgkmcnt(0)                                       // 00000000DC40: BF8CC07F
	s_barrier                                                  // 00000000DC44: BF8A0000
	ds_read_b32 v80, v10 offset:16896                          // 00000000DC48: D86C4200 5000000A
	ds_read_b32 v81, v10 offset:16960                          // 00000000DC50: D86C4240 5100000A
	ds_read_b32 v82, v10 offset:17024                          // 00000000DC58: D86C4280 5200000A
	ds_read_b32 v83, v10 offset:17088                          // 00000000DC60: D86C42C0 5300000A
	ds_read_b32 v84, v10 offset:17152                          // 00000000DC68: D86C4300 5400000A
	ds_read_b32 v85, v10 offset:17216                          // 00000000DC70: D86C4340 5500000A
	ds_read_b32 v86, v10 offset:17280                          // 00000000DC78: D86C4380 5600000A
	ds_read_b32 v87, v10 offset:17344                          // 00000000DC80: D86C43C0 5700000A
	ds_read_b32 v88, v10 offset:17408                          // 00000000DC88: D86C4400 5800000A
	ds_read_b32 v89, v10 offset:17472                          // 00000000DC90: D86C4440 5900000A
	ds_read_b32 v90, v10 offset:17536                          // 00000000DC98: D86C4480 5A00000A
	ds_read_b32 v91, v10 offset:17600                          // 00000000DCA0: D86C44C0 5B00000A
	ds_read_b32 v92, v10 offset:17664                          // 00000000DCA8: D86C4500 5C00000A
	ds_read_b32 v93, v10 offset:17728                          // 00000000DCB0: D86C4540 5D00000A
	ds_read_b32 v94, v10 offset:17792                          // 00000000DCB8: D86C4580 5E00000A
	ds_read_b32 v95, v10 offset:17856                          // 00000000DCC0: D86C45C0 5F00000A
	v_cvt_f32_i32_e32 v200, v200                               // 00000000DCC8: 7F900BC8
	v_cvt_f32_i32_e32 v201, v201                               // 00000000DCCC: 7F920BC9
	v_cvt_f32_i32_e32 v202, v202                               // 00000000DCD0: 7F940BCA
	v_cvt_f32_i32_e32 v203, v203                               // 00000000DCD4: 7F960BCB
	v_cvt_f32_i32_e32 v204, v204                               // 00000000DCD8: 7F980BCC
	v_cvt_f32_i32_e32 v205, v205                               // 00000000DCDC: 7F9A0BCD
	v_cvt_f32_i32_e32 v206, v206                               // 00000000DCE0: 7F9C0BCE
	v_cvt_f32_i32_e32 v207, v207                               // 00000000DCE4: 7F9E0BCF
	v_mul_f32_e32 v200, v59, v200                              // 00000000DCE8: 0B91913B
	v_mul_f32_e32 v201, v59, v201                              // 00000000DCEC: 0B93933B
	v_mul_f32_e32 v202, v59, v202                              // 00000000DCF0: 0B95953B
	v_mul_f32_e32 v203, v59, v203                              // 00000000DCF4: 0B97973B
	v_mul_f32_e32 v204, v59, v204                              // 00000000DCF8: 0B99993B
	v_mul_f32_e32 v205, v59, v205                              // 00000000DCFC: 0B9B9B3B
	v_mul_f32_e32 v206, v59, v206                              // 00000000DD00: 0B9D9D3B
	v_mul_f32_e32 v207, v59, v207                              // 00000000DD04: 0B9F9F3B
	s_waitcnt lgkmcnt(0)                                       // 00000000DD08: BF8CC07F
	v_max3_f32 v62, v80, v81, v62                              // 00000000DD0C: D1D3003E 04FAA350
	v_max3_f32 v62, v82, v83, v62                              // 00000000DD14: D1D3003E 04FAA752
	v_max3_f32 v62, v84, v85, v62                              // 00000000DD1C: D1D3003E 04FAAB54
	v_max3_f32 v62, v86, v87, v62                              // 00000000DD24: D1D3003E 04FAAF56
	v_max3_f32 v62, v88, v89, v62                              // 00000000DD2C: D1D3003E 04FAB358
	v_max3_f32 v62, v90, v91, v62                              // 00000000DD34: D1D3003E 04FAB75A
	v_max3_f32 v62, v92, v93, v62                              // 00000000DD3C: D1D3003E 04FABB5C
	v_max3_f32 v62, v94, v95, v62                              // 00000000DD44: D1D3003E 04FABF5E
	v_mov_b32_e32 v41, 0xff800000                              // 00000000DD4C: 7E5202FF FF800000
	v_cmp_eq_u32_e64 s[40:41], v41, v15                        // 00000000DD54: D0CA0028 00021F29
	s_nop 1                                                    // 00000000DD5C: BF800001
	v_max_f32_e32 v18, v62, v15                                // 00000000DD60: 16241F3E
	v_mul_f32_e32 v67, s64, v18                                // 00000000DD64: 0A862440
	v_fma_f32 v144, v144, s64, -v67                            // 00000000DD68: D1CB0090 850C8190
	v_fma_f32 v145, v145, s64, -v67                            // 00000000DD70: D1CB0091 850C8191
	v_fma_f32 v146, v146, s64, -v67                            // 00000000DD78: D1CB0092 850C8192
	v_fma_f32 v147, v147, s64, -v67                            // 00000000DD80: D1CB0093 850C8193
	v_fma_f32 v148, v148, s64, -v67                            // 00000000DD88: D1CB0094 850C8194
	v_fma_f32 v149, v149, s64, -v67                            // 00000000DD90: D1CB0095 850C8195
	v_fma_f32 v150, v150, s64, -v67                            // 00000000DD98: D1CB0096 850C8196
	v_fma_f32 v151, v151, s64, -v67                            // 00000000DDA0: D1CB0097 850C8197
	v_fma_f32 v152, v152, s64, -v67                            // 00000000DDA8: D1CB0098 850C8198
	v_fma_f32 v153, v153, s64, -v67                            // 00000000DDB0: D1CB0099 850C8199
	v_fma_f32 v154, v154, s64, -v67                            // 00000000DDB8: D1CB009A 850C819A
	v_fma_f32 v155, v155, s64, -v67                            // 00000000DDC0: D1CB009B 850C819B
	v_fma_f32 v156, v156, s64, -v67                            // 00000000DDC8: D1CB009C 850C819C
	v_fma_f32 v157, v157, s64, -v67                            // 00000000DDD0: D1CB009D 850C819D
	v_fma_f32 v158, v158, s64, -v67                            // 00000000DDD8: D1CB009E 850C819E
	v_fma_f32 v159, v159, s64, -v67                            // 00000000DDE0: D1CB009F 850C819F
	v_exp_f32_e32 v144, v144                                   // 00000000DDE8: 7F204190
	v_exp_f32_e32 v145, v145                                   // 00000000DDEC: 7F224191
	v_exp_f32_e32 v146, v146                                   // 00000000DDF0: 7F244192
	v_exp_f32_e32 v147, v147                                   // 00000000DDF4: 7F264193
	v_exp_f32_e32 v148, v148                                   // 00000000DDF8: 7F284194
	v_exp_f32_e32 v149, v149                                   // 00000000DDFC: 7F2A4195
	v_exp_f32_e32 v150, v150                                   // 00000000DE00: 7F2C4196
	v_exp_f32_e32 v151, v151                                   // 00000000DE04: 7F2E4197
	v_exp_f32_e32 v152, v152                                   // 00000000DE08: 7F304198
	v_exp_f32_e32 v153, v153                                   // 00000000DE0C: 7F324199
	v_exp_f32_e32 v154, v154                                   // 00000000DE10: 7F34419A
	v_exp_f32_e32 v155, v155                                   // 00000000DE14: 7F36419B
	v_exp_f32_e32 v156, v156                                   // 00000000DE18: 7F38419C
	v_exp_f32_e32 v157, v157                                   // 00000000DE1C: 7F3A419D
	v_exp_f32_e32 v158, v158                                   // 00000000DE20: 7F3C419E
	v_exp_f32_e32 v159, v159                                   // 00000000DE24: 7F3E419F
	v_mul_f32_dpp v240, v252, v144 quad_perm:[0,0,0,0] row_mask:0xf bank_mask:0xf// 00000000DE28: 0BE120FA FF0000FC
	v_mul_f32_dpp v241, v252, v145 quad_perm:[1,1,1,1] row_mask:0xf bank_mask:0xf// 00000000DE30: 0BE322FA FF0055FC
	v_mul_f32_dpp v242, v252, v146 quad_perm:[2,2,2,2] row_mask:0xf bank_mask:0xf// 00000000DE38: 0BE524FA FF00AAFC
	v_mul_f32_dpp v243, v252, v147 quad_perm:[3,3,3,3] row_mask:0xf bank_mask:0xf// 00000000DE40: 0BE726FA FF00FFFC
	v_mul_f32_dpp v244, v253, v148 quad_perm:[0,0,0,0] row_mask:0xf bank_mask:0xf// 00000000DE48: 0BE928FA FF0000FD
	v_mul_f32_dpp v245, v253, v149 quad_perm:[1,1,1,1] row_mask:0xf bank_mask:0xf// 00000000DE50: 0BEB2AFA FF0055FD
	v_mul_f32_dpp v246, v253, v150 quad_perm:[2,2,2,2] row_mask:0xf bank_mask:0xf// 00000000DE58: 0BED2CFA FF00AAFD
	v_mul_f32_dpp v247, v253, v151 quad_perm:[3,3,3,3] row_mask:0xf bank_mask:0xf// 00000000DE60: 0BEF2EFA FF00FFFD
	v_mul_f32_dpp v248, v254, v152 quad_perm:[0,0,0,0] row_mask:0xf bank_mask:0xf// 00000000DE68: 0BF130FA FF0000FE
	v_mul_f32_dpp v249, v254, v153 quad_perm:[1,1,1,1] row_mask:0xf bank_mask:0xf// 00000000DE70: 0BF332FA FF0055FE
	v_mul_f32_dpp v250, v254, v154 quad_perm:[2,2,2,2] row_mask:0xf bank_mask:0xf// 00000000DE78: 0BF534FA FF00AAFE
	v_mul_f32_dpp v251, v254, v155 quad_perm:[3,3,3,3] row_mask:0xf bank_mask:0xf// 00000000DE80: 0BF736FA FF00FFFE
	v_mul_f32_dpp v252, v255, v156 quad_perm:[0,0,0,0] row_mask:0xf bank_mask:0xf// 00000000DE88: 0BF938FA FF0000FF
	v_mul_f32_dpp v253, v255, v157 quad_perm:[1,1,1,1] row_mask:0xf bank_mask:0xf// 00000000DE90: 0BFB3AFA FF0055FF
	v_mul_f32_dpp v254, v255, v158 quad_perm:[2,2,2,2] row_mask:0xf bank_mask:0xf// 00000000DE98: 0BFD3CFA FF00AAFF
	v_mul_f32_dpp v255, v255, v159 quad_perm:[3,3,3,3] row_mask:0xf bank_mask:0xf// 00000000DEA0: 0BFF3EFA FF00FFFF
	v_mov_b32_e32 v62, 0x358637bd                              // 00000000DEA8: 7E7C02FF 358637BD
	v_max3_f32 v62, |v240|, |v241|, v62                        // 00000000DEB0: D1D3033E 04FBE3F0
	v_max3_f32 v62, |v242|, |v243|, v62                        // 00000000DEB8: D1D3033E 04FBE7F2
	v_max3_f32 v62, |v244|, |v245|, v62                        // 00000000DEC0: D1D3033E 04FBEBF4
	v_max3_f32 v62, |v246|, |v247|, v62                        // 00000000DEC8: D1D3033E 04FBEFF6
	v_max3_f32 v62, |v248|, |v249|, v62                        // 00000000DED0: D1D3033E 04FBF3F8
	v_max3_f32 v62, |v250|, |v251|, v62                        // 00000000DED8: D1D3033E 04FBF7FA
	v_max3_f32 v62, |v252|, |v253|, v62                        // 00000000DEE0: D1D3033E 04FBFBFC
	v_max3_f32 v62, |v254|, |v255|, v62                        // 00000000DEE8: D1D3033E 04FBFFFE
	ds_write_b32 v11, v62 offset:20992                         // 00000000DEF0: D81A5200 00003E0B
	v_sub_f32_e32 v64, v15, v18                                // 00000000DEF8: 0480250F
	v_cndmask_b32_e64 v64, v64, 0, s[40:41]                    // 00000000DEFC: D1000040 00A10140
	v_mov_b32_e32 v15, v18                                     // 00000000DF04: 7E1E0312
	v_mul_f32_e32 v64, s64, v64                                // 00000000DF08: 0A808040
	v_exp_f32_e32 v64, v64                                     // 00000000DF0C: 7E804140
	s_waitcnt lgkmcnt(0)                                       // 00000000DF10: BF8CC07F
	s_barrier                                                  // 00000000DF14: BF8A0000
	ds_read_b32 v80, v10 offset:20992                          // 00000000DF18: D86C5200 5000000A
	ds_read_b32 v81, v10 offset:21056                          // 00000000DF20: D86C5240 5100000A
	ds_read_b32 v82, v10 offset:21120                          // 00000000DF28: D86C5280 5200000A
	ds_read_b32 v83, v10 offset:21184                          // 00000000DF30: D86C52C0 5300000A
	ds_read_b32 v84, v10 offset:21248                          // 00000000DF38: D86C5300 5400000A
	ds_read_b32 v85, v10 offset:21312                          // 00000000DF40: D86C5340 5500000A
	ds_read_b32 v86, v10 offset:21376                          // 00000000DF48: D86C5380 5600000A
	ds_read_b32 v87, v10 offset:21440                          // 00000000DF50: D86C53C0 5700000A
	ds_read_b32 v88, v10 offset:21504                          // 00000000DF58: D86C5400 5800000A
	ds_read_b32 v89, v10 offset:21568                          // 00000000DF60: D86C5440 5900000A
	ds_read_b32 v90, v10 offset:21632                          // 00000000DF68: D86C5480 5A00000A
	ds_read_b32 v91, v10 offset:21696                          // 00000000DF70: D86C54C0 5B00000A
	ds_read_b32 v92, v10 offset:21760                          // 00000000DF78: D86C5500 5C00000A
	ds_read_b32 v93, v10 offset:21824                          // 00000000DF80: D86C5540 5D00000A
	ds_read_b32 v94, v10 offset:21888                          // 00000000DF88: D86C5580 5E00000A
	ds_read_b32 v95, v10 offset:21952                          // 00000000DF90: D86C55C0 5F00000A
	v_mul_f32_e32 v48, v64, v48                                // 00000000DF98: 0A606140
	v_mov_b32_e32 v18, v144                                    // 00000000DF9C: 7E240390
	v_add_f32_e32 v18, v145, v18                               // 00000000DFA0: 02242591
	v_add_f32_e32 v18, v146, v18                               // 00000000DFA4: 02242592
	v_add_f32_e32 v18, v147, v18                               // 00000000DFA8: 02242593
	v_add_f32_e32 v18, v148, v18                               // 00000000DFAC: 02242594
	v_add_f32_e32 v18, v149, v18                               // 00000000DFB0: 02242595
	v_add_f32_e32 v18, v150, v18                               // 00000000DFB4: 02242596
	v_add_f32_e32 v18, v151, v18                               // 00000000DFB8: 02242597
	v_add_f32_e32 v18, v152, v18                               // 00000000DFBC: 02242598
	v_add_f32_e32 v18, v153, v18                               // 00000000DFC0: 02242599
	v_add_f32_e32 v18, v154, v18                               // 00000000DFC4: 0224259A
	v_add_f32_e32 v18, v155, v18                               // 00000000DFC8: 0224259B
	v_add_f32_e32 v18, v156, v18                               // 00000000DFCC: 0224259C
	v_add_f32_e32 v18, v157, v18                               // 00000000DFD0: 0224259D
	v_add_f32_e32 v18, v158, v18                               // 00000000DFD4: 0224259E
	v_add_f32_e32 v18, v159, v18                               // 00000000DFD8: 0224259F
	v_add_f32_e32 v48, v18, v48                                // 00000000DFDC: 02606112
	s_waitcnt lgkmcnt(0)                                       // 00000000DFE0: BF8CC07F
	v_max3_f32 v62, |v80|, |v81|, v62                          // 00000000DFE4: D1D3033E 04FAA350
	v_max3_f32 v62, |v82|, |v83|, v62                          // 00000000DFEC: D1D3033E 04FAA752
	v_max3_f32 v62, |v84|, |v85|, v62                          // 00000000DFF4: D1D3033E 04FAAB54
	v_max3_f32 v62, |v86|, |v87|, v62                          // 00000000DFFC: D1D3033E 04FAAF56
	v_max3_f32 v62, |v88|, |v89|, v62                          // 00000000E004: D1D3033E 04FAB358
	v_max3_f32 v62, |v90|, |v91|, v62                          // 00000000E00C: D1D3033E 04FAB75A
	v_max3_f32 v62, |v92|, |v93|, v62                          // 00000000E014: D1D3033E 04FABB5C
	v_max3_f32 v62, |v94|, |v95|, v62                          // 00000000E01C: D1D3033E 04FABF5E
	s_nop 2                                                    // 00000000E024: BF800002
	v_rcp_f32_e32 v62, v62                                     // 00000000E028: 7E7C453E
	s_nop 1                                                    // 00000000E02C: BF800001
	v_mul_f32_e32 v62, 0x42fe0000, v62                         // 00000000E030: 0A7C7CFF 42FE0000
	v_mul_f32_e32 v144, v62, v240                              // 00000000E038: 0B21E13E
	v_mul_f32_e32 v145, v62, v241                              // 00000000E03C: 0B23E33E
	v_mul_f32_e32 v146, v62, v242                              // 00000000E040: 0B25E53E
	v_mul_f32_e32 v147, v62, v243                              // 00000000E044: 0B27E73E
	v_mul_f32_e32 v148, v62, v244                              // 00000000E048: 0B29E93E
	v_mul_f32_e32 v149, v62, v245                              // 00000000E04C: 0B2BEB3E
	v_mul_f32_e32 v150, v62, v246                              // 00000000E050: 0B2DED3E
	v_mul_f32_e32 v151, v62, v247                              // 00000000E054: 0B2FEF3E
	v_mul_f32_e32 v152, v62, v248                              // 00000000E058: 0B31F13E
	v_mul_f32_e32 v153, v62, v249                              // 00000000E05C: 0B33F33E
	v_mul_f32_e32 v154, v62, v250                              // 00000000E060: 0B35F53E
	v_mul_f32_e32 v155, v62, v251                              // 00000000E064: 0B37F73E
	v_mul_f32_e32 v156, v62, v252                              // 00000000E068: 0B39F93E
	v_mul_f32_e32 v157, v62, v253                              // 00000000E06C: 0B3BFB3E
	v_mul_f32_e32 v158, v62, v254                              // 00000000E070: 0B3DFD3E
	v_mul_f32_e32 v159, v62, v255                              // 00000000E074: 0B3FFF3E
	v_cvt_i32_f32_e32 v144, v144                               // 00000000E078: 7F201190
	v_cvt_i32_f32_e32 v145, v145                               // 00000000E07C: 7F221191
	v_cvt_i32_f32_e32 v146, v146                               // 00000000E080: 7F241192
	v_cvt_i32_f32_e32 v147, v147                               // 00000000E084: 7F261193
	v_cvt_i32_f32_e32 v148, v148                               // 00000000E088: 7F281194
	v_cvt_i32_f32_e32 v149, v149                               // 00000000E08C: 7F2A1195
	v_cvt_i32_f32_e32 v150, v150                               // 00000000E090: 7F2C1196
	v_cvt_i32_f32_e32 v151, v151                               // 00000000E094: 7F2E1197
	v_cvt_i32_f32_e32 v152, v152                               // 00000000E098: 7F301198
	v_cvt_i32_f32_e32 v153, v153                               // 00000000E09C: 7F321199
	v_cvt_i32_f32_e32 v154, v154                               // 00000000E0A0: 7F34119A
	v_cvt_i32_f32_e32 v155, v155                               // 00000000E0A4: 7F36119B
	v_cvt_i32_f32_e32 v156, v156                               // 00000000E0A8: 7F38119C
	v_cvt_i32_f32_e32 v157, v157                               // 00000000E0AC: 7F3A119D
	v_cvt_i32_f32_e32 v158, v158                               // 00000000E0B0: 7F3C119E
	v_cvt_i32_f32_e32 v159, v159                               // 00000000E0B4: 7F3E119F
	v_perm_b32 v144, v145, v144, s53                           // 00000000E0B8: D1ED0090 00D72191
	v_perm_b32 v144, v146, v144, s54                           // 00000000E0C0: D1ED0090 00DB2192
	v_perm_b32 v144, v147, v144, s55                           // 00000000E0C8: D1ED0090 00DF2193
	v_perm_b32 v145, v149, v148, s53                           // 00000000E0D0: D1ED0091 00D72995
	v_perm_b32 v145, v150, v145, s54                           // 00000000E0D8: D1ED0091 00DB2396
	v_perm_b32 v145, v151, v145, s55                           // 00000000E0E0: D1ED0091 00DF2397
	v_perm_b32 v146, v153, v152, s53                           // 00000000E0E8: D1ED0092 00D73199
	v_perm_b32 v146, v154, v146, s54                           // 00000000E0F0: D1ED0092 00DB259A
	v_perm_b32 v146, v155, v146, s55                           // 00000000E0F8: D1ED0092 00DF259B
	v_perm_b32 v147, v157, v156, s53                           // 00000000E100: D1ED0093 00D7399D
	v_perm_b32 v147, v158, v147, s54                           // 00000000E108: D1ED0093 00DB279E
	v_perm_b32 v147, v159, v147, s55                           // 00000000E110: D1ED0093 00DF279F
	ds_write_b32 v13, v144 offset:29184                        // 00000000E118: D81A7200 0000900D
	ds_write_b32 v13, v145 offset:30208                        // 00000000E120: D81A7600 0000910D
	ds_write_b32 v13, v146 offset:31232                        // 00000000E128: D81A7A00 0000920D
	ds_write_b32 v13, v147 offset:32256                        // 00000000E130: D81A7E00 0000930D
	v_add_f32_e32 v232, v232, v200                             // 00000000E138: 03D191E8
	v_add_f32_e32 v233, v233, v201                             // 00000000E13C: 03D393E9
	v_add_f32_e32 v234, v234, v202                             // 00000000E140: 03D595EA
	v_add_f32_e32 v235, v235, v203                             // 00000000E144: 03D797EB
	v_add_f32_e32 v236, v236, v204                             // 00000000E148: 03D999EC
	v_add_f32_e32 v237, v237, v205                             // 00000000E14C: 03DB9BED
	v_add_f32_e32 v238, v238, v206                             // 00000000E150: 03DD9DEE
	v_add_f32_e32 v239, v239, v207                             // 00000000E154: 03DF9FEF
	v_rcp_f32_e32 v59, v62                                     // 00000000E158: 7E76453E
	s_waitcnt lgkmcnt(0)                                       // 00000000E15C: BF8CC07F
	s_barrier                                                  // 00000000E160: BF8A0000
	ds_read_b64 v[144:145], v12 offset:29184                   // 00000000E164: D8EC7200 9000000C
	ds_read_b64 v[146:147], v12 offset:29312                   // 00000000E16C: D8EC7280 9200000C
	ds_read_b64 v[148:149], v12 offset:30208                   // 00000000E174: D8EC7600 9400000C
	ds_read_b64 v[150:151], v12 offset:30336                   // 00000000E17C: D8EC7680 9600000C
	ds_read_b64 v[152:153], v12 offset:31232                   // 00000000E184: D8EC7A00 9800000C
	ds_read_b64 v[154:155], v12 offset:31360                   // 00000000E18C: D8EC7A80 9A00000C
	ds_read_b64 v[156:157], v12 offset:32256                   // 00000000E194: D8EC7E00 9C00000C
	ds_read_b64 v[158:159], v12 offset:32384                   // 00000000E19C: D8EC7E80 9E00000C
	s_waitcnt vmcnt(15)                                        // 00000000E1A4: BF8C0F7F
	v_mfma_i32_16x16x32_i8 v[192:195], a[96:97], v[128:129], 0 // 00000000E1A8: D3D700C0 0A030160
	v_mfma_i32_16x16x32_i8 v[192:195], a[98:99], v[130:131], v[192:195]// 00000000E1B0: D3D700C0 0F030562
	buffer_load_dwordx4 a[80:83], v33, s[20:23], 0 offen offset:1024// 00000000E1B8: E05C1400 80855021
	v_mfma_i32_16x16x32_i8 v[192:195], a[100:101], v[132:133], v[192:195]// 00000000E1C0: D3D700C0 0F030964
	v_mfma_i32_16x16x32_i8 v[192:195], a[102:103], v[134:135], v[192:195]// 00000000E1C8: D3D700C0 0F030D66
	v_mfma_i32_16x16x32_i8 v[192:195], a[104:105], v[136:137], v[192:195]// 00000000E1D0: D3D700C0 0F031168
	v_mfma_i32_16x16x32_i8 v[192:195], a[106:107], v[138:139], v[192:195]// 00000000E1D8: D3D700C0 0F03156A
	buffer_load_dwordx4 a[84:87], v34, s[20:23], 0 offen offset:1024// 00000000E1E0: E05C1400 80855422
	v_mfma_i32_16x16x32_i8 v[192:195], a[108:109], v[140:141], v[192:195]// 00000000E1E8: D3D700C0 0F03196C
	v_mfma_i32_16x16x32_i8 v[192:195], a[110:111], v[142:143], v[192:195]// 00000000E1F0: D3D700C0 0F031D6E
	v_mfma_i32_16x16x32_i8 v[196:199], a[112:113], v[128:129], 0// 00000000E1F8: D3D700C4 0A030170
	v_mfma_i32_16x16x32_i8 v[196:199], a[114:115], v[130:131], v[196:199]// 00000000E200: D3D700C4 0F130572
	buffer_load_dwordx4 a[88:91], v35, s[20:23], 0 offen offset:1024// 00000000E208: E05C1400 80855823
	v_mfma_i32_16x16x32_i8 v[196:199], a[116:117], v[132:133], v[196:199]// 00000000E210: D3D700C4 0F130974
	v_mfma_i32_16x16x32_i8 v[196:199], a[118:119], v[134:135], v[196:199]// 00000000E218: D3D700C4 0F130D76
	v_mfma_i32_16x16x32_i8 v[196:199], a[120:121], v[136:137], v[196:199]// 00000000E220: D3D700C4 0F131178
	v_mfma_i32_16x16x32_i8 v[196:199], a[122:123], v[138:139], v[196:199]// 00000000E228: D3D700C4 0F13157A
	buffer_load_dwordx4 a[92:95], v36, s[20:23], 0 offen offset:1024// 00000000E230: E05C1400 80855C24
	v_mfma_i32_16x16x32_i8 v[196:199], a[124:125], v[140:141], v[196:199]// 00000000E238: D3D700C4 0F13197C
	s_lshr_b32 s57, s70, 4                                     // 00000000E240: 8F398446
	s_add_u32 s57, 48, s57                                     // 00000000E244: 803939B0
	v_mfma_i32_16x16x32_i8 v[196:199], a[126:127], v[142:143], v[196:199]// 00000000E248: D3D700C4 0F131D7E
	s_cmp_ge_u32 s57, s73                                      // 00000000E250: BF094939
	s_cselect_b32 s56, 0, s56                                  // 00000000E254: 85383880
	v_mfma_i32_16x16x32_i8 v[200:203], a[96:97], v[144:145], 0 // 00000000E258: D3D700C8 0A032160
	v_mfma_i32_16x16x32_i8 v[200:203], a[98:99], v[146:147], v[200:203]// 00000000E260: D3D700C8 0F232562
	v_mfma_i32_16x16x32_i8 v[200:203], a[100:101], v[148:149], v[200:203]// 00000000E268: D3D700C8 0F232964
	v_mfma_i32_16x16x32_i8 v[200:203], a[102:103], v[150:151], v[200:203]// 00000000E270: D3D700C8 0F232D66
	v_mfma_i32_16x16x32_i8 v[200:203], a[104:105], v[152:153], v[200:203]// 00000000E278: D3D700C8 0F233168
	v_mfma_i32_16x16x32_i8 v[200:203], a[106:107], v[154:155], v[200:203]// 00000000E280: D3D700C8 0F23356A
	v_mfma_i32_16x16x32_i8 v[200:203], a[108:109], v[156:157], v[200:203]// 00000000E288: D3D700C8 0F23396C
	v_mfma_i32_16x16x32_i8 v[200:203], a[110:111], v[158:159], v[200:203]// 00000000E290: D3D700C8 0F233D6E
	v_mfma_i32_16x16x32_i8 v[204:207], a[112:113], v[144:145], 0// 00000000E298: D3D700CC 0A032170
	v_mfma_i32_16x16x32_i8 v[204:207], a[114:115], v[146:147], v[204:207]// 00000000E2A0: D3D700CC 0F332572
	v_mfma_i32_16x16x32_i8 v[204:207], a[116:117], v[148:149], v[204:207]// 00000000E2A8: D3D700CC 0F332974
	v_mfma_i32_16x16x32_i8 v[204:207], a[118:119], v[150:151], v[204:207]// 00000000E2B0: D3D700CC 0F332D76
	v_mfma_i32_16x16x32_i8 v[204:207], a[120:121], v[152:153], v[204:207]// 00000000E2B8: D3D700CC 0F333178
	v_mfma_i32_16x16x32_i8 v[204:207], a[122:123], v[154:155], v[204:207]// 00000000E2C0: D3D700CC 0F33357A
	v_mfma_i32_16x16x32_i8 v[204:207], a[124:125], v[156:157], v[204:207]// 00000000E2C8: D3D700CC 0F33397C
	v_mfma_i32_16x16x32_i8 v[204:207], a[126:127], v[158:159], v[204:207]// 00000000E2D0: D3D700CC 0F333D7E
	v_add_u32_e32 v1, s56, v1                                  // 00000000E2D8: 68020238
	s_addk_i32 s70, 0x100                                      // 00000000E2DC: B7460100
	s_cmp_lt_i32 s70, s71                                      // 00000000E2E0: BF044746
	s_cbranch_scc0 label_303B                                  // 00000000E2E4: BF840001
	s_branch label_2528                                        // 00000000E2E8: BF82F4ED

000000000000e2ec <label_303B>:
	s_nop 0                                                    // 00000000E2EC: BF800000
	s_nop 0                                                    // 00000000E2F0: BF800000
	s_branch label_3B51                                        // 00000000E2F4: BF820B13

000000000000e2f8 <label_303E>:
	s_waitcnt vmcnt(8) lgkmcnt(0)                              // 00000000E2F8: BF8C0078
	v_mul_u32_u24_dpp v41, v20, v68 row_newbcast:0 row_mask:0xf bank_mask:0xf// 00000000E2FC: 105288FA FF015014
	v_mul_u32_u24_dpp v42, v20, v68 row_newbcast:4 row_mask:0xf bank_mask:0xf// 00000000E304: 105488FA FF015414
	v_mul_u32_u24_dpp v43, v20, v68 row_newbcast:8 row_mask:0xf bank_mask:0xf// 00000000E30C: 105688FA FF015814
	v_mul_u32_u24_dpp v44, v20, v68 row_newbcast:12 row_mask:0xf bank_mask:0xf// 00000000E314: 105888FA FF015C14
	v_add_u32_e32 v29, v41, v6                                 // 00000000E31C: 683A0D29
	v_add_u32_e32 v30, v42, v6                                 // 00000000E320: 683C0D2A
	v_add_u32_e32 v31, v43, v6                                 // 00000000E324: 683E0D2B
	v_add_u32_e32 v32, v44, v6                                 // 00000000E328: 68400D2C
	v_mul_u32_u24_dpp v41, v20, v78 quad_perm:[0,0,0,0] row_mask:0xf bank_mask:0xf// 00000000E32C: 10529CFA FF000014
	v_add_u32_e32 v3, v41, v74                                 // 00000000E334: 68069529
	v_mul_u32_u24_dpp v41, v20, v78 quad_perm:[0,0,0,0] row_mask:0xf bank_mask:0xf// 00000000E338: 10529CFA FF000014
	v_add_u32_e32 v71, v41, v75                                // 00000000E340: 688E9729
	v_mfma_i32_16x16x32_i8 v[128:131], a[0:1], v[96:97], 0     // 00000000E344: D3D70080 0A02C100
	buffer_load_dwordx4 a[32:35], v29, s[16:19], 0 offen       // 00000000E34C: E05C1000 8084201D
	v_mfma_i32_16x16x32_i8 v[128:131], a[2:3], v[98:99], v[128:131]// 00000000E354: D3D70080 0E02C502
	v_mfma_i32_16x16x32_i8 v[128:131], a[4:5], v[100:101], v[128:131]// 00000000E35C: D3D70080 0E02C904
	buffer_load_dword v19, v1, s[24:27], 0 offen               // 00000000E364: E0501000 80061301
	v_mfma_i32_16x16x32_i8 v[128:131], a[6:7], v[102:103], v[128:131]// 00000000E36C: D3D70080 0E02CD06
	v_mfma_i32_16x16x32_i8 v[132:135], a[8:9], v[96:97], 0     // 00000000E374: D3D70084 0A02C108
	buffer_load_dwordx4 a[36:39], v29, s[16:19], 0 offen offset:1024// 00000000E37C: E05C1400 8084241D
	v_mfma_i32_16x16x32_i8 v[132:135], a[10:11], v[98:99], v[132:135]// 00000000E384: D3D70084 0E12C50A
	v_mfma_i32_16x16x32_i8 v[132:135], a[12:13], v[100:101], v[132:135]// 00000000E38C: D3D70084 0E12C90C
	v_mfma_i32_16x16x32_i8 v[132:135], a[14:15], v[102:103], v[132:135]// 00000000E394: D3D70084 0E12CD0E
	v_mfma_i32_16x16x32_i8 v[136:139], a[16:17], v[96:97], 0   // 00000000E39C: D3D70088 0A02C110
	buffer_load_dwordx4 a[40:43], v30, s[16:19], 0 offen       // 00000000E3A4: E05C1000 8084281E
	v_mfma_i32_16x16x32_i8 v[136:139], a[18:19], v[98:99], v[136:139]// 00000000E3AC: D3D70088 0E22C512
	v_mfma_i32_16x16x32_i8 v[136:139], a[20:21], v[100:101], v[136:139]// 00000000E3B4: D3D70088 0E22C914
	v_mfma_i32_16x16x32_i8 v[136:139], a[22:23], v[102:103], v[136:139]// 00000000E3BC: D3D70088 0E22CD16
	v_mfma_i32_16x16x32_i8 v[140:143], a[24:25], v[96:97], 0   // 00000000E3C4: D3D7008C 0A02C118
	buffer_load_dwordx4 a[44:47], v30, s[16:19], 0 offen offset:1024// 00000000E3CC: E05C1400 80842C1E
	v_mfma_i32_16x16x32_i8 v[140:143], a[26:27], v[98:99], v[140:143]// 00000000E3D4: D3D7008C 0E32C51A
	v_mfma_i32_16x16x32_i8 v[140:143], a[28:29], v[100:101], v[140:143]// 00000000E3DC: D3D7008C 0E32C91C
	v_mfma_i32_16x16x32_i8 v[140:143], a[30:31], v[102:103], v[140:143]// 00000000E3E4: D3D7008C 0E32CD1E
	v_mfma_i32_16x16x32_i8 v[144:147], a[0:1], v[104:105], 0   // 00000000E3EC: D3D70090 0A02D100
	v_mfma_i32_16x16x32_i8 v[144:147], a[2:3], v[106:107], v[144:147]// 00000000E3F4: D3D70090 0E42D502
	v_mfma_i32_16x16x32_i8 v[144:147], a[4:5], v[108:109], v[144:147]// 00000000E3FC: D3D70090 0E42D904
	v_mfma_i32_16x16x32_i8 v[144:147], a[6:7], v[110:111], v[144:147]// 00000000E404: D3D70090 0E42DD06
	v_mfma_i32_16x16x32_i8 v[148:151], a[8:9], v[104:105], 0   // 00000000E40C: D3D70094 0A02D108
	v_mfma_i32_16x16x32_i8 v[148:151], a[10:11], v[106:107], v[148:151]// 00000000E414: D3D70094 0E52D50A
	v_mfma_i32_16x16x32_i8 v[148:151], a[12:13], v[108:109], v[148:151]// 00000000E41C: D3D70094 0E52D90C
	v_mfma_i32_16x16x32_i8 v[148:151], a[14:15], v[110:111], v[148:151]// 00000000E424: D3D70094 0E52DD0E
	v_mfma_i32_16x16x32_i8 v[152:155], a[16:17], v[104:105], 0 // 00000000E42C: D3D70098 0A02D110
	v_mfma_i32_16x16x32_i8 v[152:155], a[18:19], v[106:107], v[152:155]// 00000000E434: D3D70098 0E62D512
	v_mfma_i32_16x16x32_i8 v[152:155], a[20:21], v[108:109], v[152:155]// 00000000E43C: D3D70098 0E62D914
	v_mfma_i32_16x16x32_i8 v[152:155], a[22:23], v[110:111], v[152:155]// 00000000E444: D3D70098 0E62DD16
	v_mfma_i32_16x16x32_i8 v[156:159], a[24:25], v[104:105], 0 // 00000000E44C: D3D7009C 0A02D118
	v_mfma_i32_16x16x32_i8 v[156:159], a[26:27], v[106:107], v[156:159]// 00000000E454: D3D7009C 0E72D51A
	v_mfma_i32_16x16x32_i8 v[156:159], a[28:29], v[108:109], v[156:159]// 00000000E45C: D3D7009C 0E72D91C
	v_mfma_i32_16x16x32_i8 v[156:159], a[30:31], v[110:111], v[156:159]// 00000000E464: D3D7009C 0E72DD1E
	buffer_load_dword v53, v3, s[32:35], 0 offen               // 00000000E46C: E0501000 80083503
	v_mov_b32_dpp v41, v52 row_shr:4 row_mask:0xf bank_mask:0xf// 00000000E474: 7E5202FA FF011434
	v_mov_b32_dpp v42, v52 row_shl:4 row_mask:0xf bank_mask:0xf// 00000000E47C: 7E5402FA FF010434
	v_cndmask_b32_e64 v248, v52, v41, s[44:45]                 // 00000000E484: D10000F8 00B25334
	v_cndmask_b32_e64 v249, v42, v52, s[44:45]                 // 00000000E48C: D10000F9 00B2692A
	v_mov_b32_dpp v41, v248 row_shr:8 row_mask:0xf bank_mask:0xf// 00000000E494: 7E5202FA FF0118F8
	v_mov_b32_dpp v42, v248 row_shl:8 row_mask:0xf bank_mask:0xf// 00000000E49C: 7E5402FA FF0108F8
	v_mov_b32_dpp v43, v249 row_shr:8 row_mask:0xf bank_mask:0xf// 00000000E4A4: 7E5602FA FF0118F9
	v_mov_b32_dpp v44, v249 row_shl:8 row_mask:0xf bank_mask:0xf// 00000000E4AC: 7E5802FA FF0108F9
	v_mov_b32_e32 v45, v248                                    // 00000000E4B4: 7E5A03F8
	v_mov_b32_e32 v46, v249                                    // 00000000E4B8: 7E5C03F9
	v_cndmask_b32_e64 v248, v45, v41, s[42:43]                 // 00000000E4BC: D10000F8 00AA532D
	v_cndmask_b32_e64 v250, v45, v42, s[78:79]                 // 00000000E4C4: D10000FA 013A552D
	v_cndmask_b32_e64 v249, v46, v43, s[42:43]                 // 00000000E4CC: D10000F9 00AA572E
	v_cndmask_b32_e64 v251, v46, v44, s[78:79]                 // 00000000E4D4: D10000FB 013A592E
	v_mov_b32_dpp v41, v72 row_shr:4 row_mask:0xf bank_mask:0xf// 00000000E4DC: 7E5202FA FF011448
	v_mov_b32_dpp v42, v72 row_shl:4 row_mask:0xf bank_mask:0xf// 00000000E4E4: 7E5402FA FF010448
	v_cndmask_b32_e64 v252, v72, v41, s[44:45]                 // 00000000E4EC: D10000FC 00B25348
	v_cndmask_b32_e64 v253, v42, v72, s[44:45]                 // 00000000E4F4: D10000FD 00B2912A
	v_mov_b32_dpp v41, v252 row_shr:8 row_mask:0xf bank_mask:0xf// 00000000E4FC: 7E5202FA FF0118FC
	v_mov_b32_dpp v42, v252 row_shl:8 row_mask:0xf bank_mask:0xf// 00000000E504: 7E5402FA FF0108FC
	v_mov_b32_dpp v43, v253 row_shr:8 row_mask:0xf bank_mask:0xf// 00000000E50C: 7E5602FA FF0118FD
	v_mov_b32_dpp v44, v253 row_shl:8 row_mask:0xf bank_mask:0xf// 00000000E514: 7E5802FA FF0108FD
	v_mov_b32_e32 v45, v252                                    // 00000000E51C: 7E5A03FC
	v_mov_b32_e32 v46, v253                                    // 00000000E520: 7E5C03FD
	v_cndmask_b32_e64 v252, v45, v41, s[42:43]                 // 00000000E524: D10000FC 00AA532D
	v_cndmask_b32_e64 v254, v45, v42, s[78:79]                 // 00000000E52C: D10000FE 013A552D
	v_cndmask_b32_e64 v253, v46, v43, s[42:43]                 // 00000000E534: D10000FD 00AA572E
	v_cndmask_b32_e64 v255, v46, v44, s[78:79]                 // 00000000E53C: D10000FF 013A592E
	buffer_load_dword v73, v71, s[36:39], 0 offen              // 00000000E544: E0501000 80094947
	v_cvt_f32_i32_e32 v128, v128                               // 00000000E54C: 7F000B80
	v_cvt_f32_i32_e32 v129, v129                               // 00000000E550: 7F020B81
	v_cvt_f32_i32_e32 v130, v130                               // 00000000E554: 7F040B82
	v_cvt_f32_i32_e32 v131, v131                               // 00000000E558: 7F060B83
	v_cvt_f32_i32_e32 v132, v132                               // 00000000E55C: 7F080B84
	v_cvt_f32_i32_e32 v133, v133                               // 00000000E560: 7F0A0B85
	v_cvt_f32_i32_e32 v134, v134                               // 00000000E564: 7F0C0B86
	v_cvt_f32_i32_e32 v135, v135                               // 00000000E568: 7F0E0B87
	v_cvt_f32_i32_e32 v136, v136                               // 00000000E56C: 7F100B88
	v_cvt_f32_i32_e32 v137, v137                               // 00000000E570: 7F120B89
	v_cvt_f32_i32_e32 v138, v138                               // 00000000E574: 7F140B8A
	v_cvt_f32_i32_e32 v139, v139                               // 00000000E578: 7F160B8B
	v_cvt_f32_i32_e32 v140, v140                               // 00000000E57C: 7F180B8C
	v_cvt_f32_i32_e32 v141, v141                               // 00000000E580: 7F1A0B8D
	v_cvt_f32_i32_e32 v142, v142                               // 00000000E584: 7F1C0B8E
	v_cvt_f32_i32_e32 v143, v143                               // 00000000E588: 7F1E0B8F
	v_mul_f32_e32 v128, v54, v128                              // 00000000E58C: 0B010136
	v_mul_f32_e32 v129, v54, v129                              // 00000000E590: 0B030336
	v_mul_f32_e32 v130, v54, v130                              // 00000000E594: 0B050536
	v_mul_f32_e32 v131, v54, v131                              // 00000000E598: 0B070736
	v_mul_f32_e32 v132, v54, v132                              // 00000000E59C: 0B090936
	v_mul_f32_e32 v133, v54, v133                              // 00000000E5A0: 0B0B0B36
	v_mul_f32_e32 v134, v54, v134                              // 00000000E5A4: 0B0D0D36
	v_mul_f32_e32 v135, v54, v135                              // 00000000E5A8: 0B0F0F36
	v_mul_f32_e32 v136, v54, v136                              // 00000000E5AC: 0B111136
	v_mul_f32_e32 v137, v54, v137                              // 00000000E5B0: 0B131336
	v_mul_f32_e32 v138, v54, v138                              // 00000000E5B4: 0B151536
	v_mul_f32_e32 v139, v54, v139                              // 00000000E5B8: 0B171736
	v_mul_f32_e32 v140, v54, v140                              // 00000000E5BC: 0B191936
	v_mul_f32_e32 v141, v54, v141                              // 00000000E5C0: 0B1B1B36
	v_mul_f32_e32 v142, v54, v142                              // 00000000E5C4: 0B1D1D36
	v_mul_f32_e32 v143, v54, v143                              // 00000000E5C8: 0B1F1F36
	buffer_load_dwordx4 a[48:51], v31, s[16:19], 0 offen       // 00000000E5CC: E05C1000 8084301F
	v_mul_f32_dpp v128, v248, v128 quad_perm:[0,0,0,0] row_mask:0xf bank_mask:0xf// 00000000E5D4: 0B0100FA FF0000F8
	v_mul_f32_dpp v129, v248, v129 quad_perm:[1,1,1,1] row_mask:0xf bank_mask:0xf// 00000000E5DC: 0B0302FA FF0055F8
	v_mul_f32_dpp v130, v248, v130 quad_perm:[2,2,2,2] row_mask:0xf bank_mask:0xf// 00000000E5E4: 0B0504FA FF00AAF8
	v_mul_f32_dpp v131, v248, v131 quad_perm:[3,3,3,3] row_mask:0xf bank_mask:0xf// 00000000E5EC: 0B0706FA FF00FFF8
	v_mul_f32_dpp v132, v249, v132 quad_perm:[0,0,0,0] row_mask:0xf bank_mask:0xf// 00000000E5F4: 0B0908FA FF0000F9
	v_mul_f32_dpp v133, v249, v133 quad_perm:[1,1,1,1] row_mask:0xf bank_mask:0xf// 00000000E5FC: 0B0B0AFA FF0055F9
	v_mul_f32_dpp v134, v249, v134 quad_perm:[2,2,2,2] row_mask:0xf bank_mask:0xf// 00000000E604: 0B0D0CFA FF00AAF9
	v_mul_f32_dpp v135, v249, v135 quad_perm:[3,3,3,3] row_mask:0xf bank_mask:0xf// 00000000E60C: 0B0F0EFA FF00FFF9
	v_mul_f32_dpp v136, v250, v136 quad_perm:[0,0,0,0] row_mask:0xf bank_mask:0xf// 00000000E614: 0B1110FA FF0000FA
	v_mul_f32_dpp v137, v250, v137 quad_perm:[1,1,1,1] row_mask:0xf bank_mask:0xf// 00000000E61C: 0B1312FA FF0055FA
	v_mul_f32_dpp v138, v250, v138 quad_perm:[2,2,2,2] row_mask:0xf bank_mask:0xf// 00000000E624: 0B1514FA FF00AAFA
	v_mul_f32_dpp v139, v250, v139 quad_perm:[3,3,3,3] row_mask:0xf bank_mask:0xf// 00000000E62C: 0B1716FA FF00FFFA
	v_mul_f32_dpp v140, v251, v140 quad_perm:[0,0,0,0] row_mask:0xf bank_mask:0xf// 00000000E634: 0B1918FA FF0000FB
	v_mul_f32_dpp v141, v251, v141 quad_perm:[1,1,1,1] row_mask:0xf bank_mask:0xf// 00000000E63C: 0B1B1AFA FF0055FB
	v_mul_f32_dpp v142, v251, v142 quad_perm:[2,2,2,2] row_mask:0xf bank_mask:0xf// 00000000E644: 0B1D1CFA FF00AAFB
	v_mul_f32_dpp v143, v251, v143 quad_perm:[3,3,3,3] row_mask:0xf bank_mask:0xf// 00000000E64C: 0B1F1EFA FF00FFFB
	buffer_load_dwordx4 a[52:55], v31, s[16:19], 0 offen offset:1024// 00000000E654: E05C1400 8084341F
	s_cmp_le_i32 s90, s89                                      // 00000000E65C: BF05595A
	s_cbranch_scc1 label_318C                                  // 00000000E660: BF850073
	v_mov_b32_e32 v69, 0xff800000                              // 00000000E664: 7E8A02FF FF800000
	s_mov_b32 s60, s90                                         // 00000000E66C: BEBC005A
	s_add_u32 s61, s89, 0xff                                   // 00000000E670: 803DFF59 000000FF
	v_mov_b32_e32 v41, s61                                     // 00000000E678: 7E52023D
	v_lshrrev_b32_e32 v240, 4, v0                              // 00000000E67C: 21E00084
	v_mul_i32_i24_e32 v240, 4, v240                            // 00000000E680: 0DE1E084
	v_add_u32_e32 v240, s60, v240                              // 00000000E684: 69E1E03C
	v_and_b32_e32 v42, 15, v0                                  // 00000000E688: 2654008F
	v_lshrrev_b32_e32 v42, 3, v42                              // 00000000E68C: 20545483
	s_mov_b32 s61, 0                                           // 00000000E690: BEBD0080
	s_mul_i32 s60, 16, s7                                      // 00000000E694: 923C0790
	v_add_u32_e32 v42, s61, v42                                // 00000000E698: 6854543D
	v_sub_u32_e32 v240, v240, v42                              // 00000000E69C: 6BE055F0
	v_add_u32_e32 v240, s60, v240                              // 00000000E6A0: 69E1E03C
	v_add_u32_e32 v241, 1, v240                                // 00000000E6A4: 69E3E081
	v_add_u32_e32 v242, 2, v240                                // 00000000E6A8: 69E5E082
	v_add_u32_e32 v243, 3, v240                                // 00000000E6AC: 69E7E083
	v_cmp_le_u32_e64 s[40:41], v240, v41                       // 00000000E6B0: D0CB0028 000253F0
	v_add_u32_e32 v240, 64, v240                               // 00000000E6B8: 69E1E0C0
	s_nop 0                                                    // 00000000E6BC: BF800000
	v_cndmask_b32_e64 v128, v69, v128, s[40:41]                // 00000000E6C0: D1000080 00A30145
	v_cmp_le_u32_e64 s[40:41], v241, v41                       // 00000000E6C8: D0CB0028 000253F1
	v_add_u32_e32 v241, 64, v241                               // 00000000E6D0: 69E3E2C0
	s_nop 0                                                    // 00000000E6D4: BF800000
	v_cndmask_b32_e64 v129, v69, v129, s[40:41]                // 00000000E6D8: D1000081 00A30345
	v_cmp_le_u32_e64 s[40:41], v242, v41                       // 00000000E6E0: D0CB0028 000253F2
	v_add_u32_e32 v242, 64, v242                               // 00000000E6E8: 69E5E4C0
	s_nop 0                                                    // 00000000E6EC: BF800000
	v_cndmask_b32_e64 v130, v69, v130, s[40:41]                // 00000000E6F0: D1000082 00A30545
	v_cmp_le_u32_e64 s[40:41], v243, v41                       // 00000000E6F8: D0CB0028 000253F3
	v_add_u32_e32 v243, 64, v243                               // 00000000E700: 69E7E6C0
	s_nop 0                                                    // 00000000E704: BF800000
	v_cndmask_b32_e64 v131, v69, v131, s[40:41]                // 00000000E708: D1000083 00A30745
	v_cmp_le_u32_e64 s[40:41], v240, v41                       // 00000000E710: D0CB0028 000253F0
	v_add_u32_e32 v240, 64, v240                               // 00000000E718: 69E1E0C0
	s_nop 0                                                    // 00000000E71C: BF800000
	v_cndmask_b32_e64 v132, v69, v132, s[40:41]                // 00000000E720: D1000084 00A30945
	v_cmp_le_u32_e64 s[40:41], v241, v41                       // 00000000E728: D0CB0028 000253F1
	v_add_u32_e32 v241, 64, v241                               // 00000000E730: 69E3E2C0
	s_nop 0                                                    // 00000000E734: BF800000
	v_cndmask_b32_e64 v133, v69, v133, s[40:41]                // 00000000E738: D1000085 00A30B45
	v_cmp_le_u32_e64 s[40:41], v242, v41                       // 00000000E740: D0CB0028 000253F2
	v_add_u32_e32 v242, 64, v242                               // 00000000E748: 69E5E4C0
	s_nop 0                                                    // 00000000E74C: BF800000
	v_cndmask_b32_e64 v134, v69, v134, s[40:41]                // 00000000E750: D1000086 00A30D45
	v_cmp_le_u32_e64 s[40:41], v243, v41                       // 00000000E758: D0CB0028 000253F3
	v_add_u32_e32 v243, 64, v243                               // 00000000E760: 69E7E6C0
	s_nop 0                                                    // 00000000E764: BF800000
	v_cndmask_b32_e64 v135, v69, v135, s[40:41]                // 00000000E768: D1000087 00A30F45
	v_cmp_le_u32_e64 s[40:41], v240, v41                       // 00000000E770: D0CB0028 000253F0
	v_add_u32_e32 v240, 64, v240                               // 00000000E778: 69E1E0C0
	s_nop 0                                                    // 00000000E77C: BF800000
	v_cndmask_b32_e64 v136, v69, v136, s[40:41]                // 00000000E780: D1000088 00A31145
	v_cmp_le_u32_e64 s[40:41], v241, v41                       // 00000000E788: D0CB0028 000253F1
	v_add_u32_e32 v241, 64, v241                               // 00000000E790: 69E3E2C0
	s_nop 0                                                    // 00000000E794: BF800000
	v_cndmask_b32_e64 v137, v69, v137, s[40:41]                // 00000000E798: D1000089 00A31345
	v_cmp_le_u32_e64 s[40:41], v242, v41                       // 00000000E7A0: D0CB0028 000253F2
	v_add_u32_e32 v242, 64, v242                               // 00000000E7A8: 69E5E4C0
	s_nop 0                                                    // 00000000E7AC: BF800000
	v_cndmask_b32_e64 v138, v69, v138, s[40:41]                // 00000000E7B0: D100008A 00A31545
	v_cmp_le_u32_e64 s[40:41], v243, v41                       // 00000000E7B8: D0CB0028 000253F3
	v_add_u32_e32 v243, 64, v243                               // 00000000E7C0: 69E7E6C0
	s_nop 0                                                    // 00000000E7C4: BF800000
	v_cndmask_b32_e64 v139, v69, v139, s[40:41]                // 00000000E7C8: D100008B 00A31745
	v_cmp_le_u32_e64 s[40:41], v240, v41                       // 00000000E7D0: D0CB0028 000253F0
	v_add_u32_e32 v240, 64, v240                               // 00000000E7D8: 69E1E0C0
	s_nop 0                                                    // 00000000E7DC: BF800000
	v_cndmask_b32_e64 v140, v69, v140, s[40:41]                // 00000000E7E0: D100008C 00A31945
	v_cmp_le_u32_e64 s[40:41], v241, v41                       // 00000000E7E8: D0CB0028 000253F1
	v_add_u32_e32 v241, 64, v241                               // 00000000E7F0: 69E3E2C0
	s_nop 0                                                    // 00000000E7F4: BF800000
	v_cndmask_b32_e64 v141, v69, v141, s[40:41]                // 00000000E7F8: D100008D 00A31B45
	v_cmp_le_u32_e64 s[40:41], v242, v41                       // 00000000E800: D0CB0028 000253F2
	v_add_u32_e32 v242, 64, v242                               // 00000000E808: 69E5E4C0
	s_nop 0                                                    // 00000000E80C: BF800000
	v_cndmask_b32_e64 v142, v69, v142, s[40:41]                // 00000000E810: D100008E 00A31D45
	v_cmp_le_u32_e64 s[40:41], v243, v41                       // 00000000E818: D0CB0028 000253F3
	v_add_u32_e32 v243, 64, v243                               // 00000000E820: 69E7E6C0
	s_nop 0                                                    // 00000000E824: BF800000
	v_cndmask_b32_e64 v143, v69, v143, s[40:41]                // 00000000E828: D100008F 00A31F45

000000000000e830 <label_318C>:
	v_mov_b32_e32 v62, v128                                    // 00000000E830: 7E7C0380
	v_max3_f32 v62, v128, v129, v62                            // 00000000E834: D1D3003E 04FB0380
	v_max3_f32 v62, v130, v131, v62                            // 00000000E83C: D1D3003E 04FB0782
	v_max3_f32 v62, v132, v133, v62                            // 00000000E844: D1D3003E 04FB0B84
	v_max3_f32 v62, v134, v135, v62                            // 00000000E84C: D1D3003E 04FB0F86
	v_max3_f32 v62, v136, v137, v62                            // 00000000E854: D1D3003E 04FB1388
	v_max3_f32 v62, v138, v139, v62                            // 00000000E85C: D1D3003E 04FB178A
	v_max3_f32 v62, v140, v141, v62                            // 00000000E864: D1D3003E 04FB1B8C
	v_max3_f32 v62, v142, v143, v62                            // 00000000E86C: D1D3003E 04FB1F8E
	ds_write_b32 v11, v62 offset:16896                         // 00000000E874: D81A4200 00003E0B
	buffer_load_dwordx4 a[56:59], v32, s[16:19], 0 offen       // 00000000E87C: E05C1000 80843820
	v_mul_u32_u24_dpp v41, v20, v68 row_newbcast:1 row_mask:0xf bank_mask:0xf// 00000000E884: 105288FA FF015114
	v_mul_u32_u24_dpp v42, v20, v68 row_newbcast:5 row_mask:0xf bank_mask:0xf// 00000000E88C: 105488FA FF015514
	v_mul_u32_u24_dpp v43, v20, v68 row_newbcast:9 row_mask:0xf bank_mask:0xf// 00000000E894: 105688FA FF015914
	v_mul_u32_u24_dpp v44, v20, v68 row_newbcast:13 row_mask:0xf bank_mask:0xf// 00000000E89C: 105888FA FF015D14
	v_add_u32_e32 v37, v41, v7                                 // 00000000E8A4: 684A0F29
	v_add_u32_e32 v38, v42, v7                                 // 00000000E8A8: 684C0F2A
	v_add_u32_e32 v39, v43, v7                                 // 00000000E8AC: 684E0F2B
	v_add_u32_e32 v40, v44, v7                                 // 00000000E8B0: 68500F2C
	v_mul_f32_e32 v224, v63, v224                              // 00000000E8B4: 0BC1C13F
	v_mul_f32_e32 v225, v63, v225                              // 00000000E8B8: 0BC3C33F
	v_mul_f32_e32 v226, v63, v226                              // 00000000E8BC: 0BC5C53F
	v_mul_f32_e32 v227, v63, v227                              // 00000000E8C0: 0BC7C73F
	v_mul_f32_e32 v228, v63, v228                              // 00000000E8C4: 0BC9C93F
	v_mul_f32_e32 v229, v63, v229                              // 00000000E8C8: 0BCBCB3F
	v_mul_f32_e32 v230, v63, v230                              // 00000000E8CC: 0BCDCD3F
	v_mul_f32_e32 v231, v63, v231                              // 00000000E8D0: 0BCFCF3F
	s_waitcnt lgkmcnt(0)                                       // 00000000E8D4: BF8CC07F
	s_barrier                                                  // 00000000E8D8: BF8A0000
	ds_read_b32 v80, v10 offset:16896                          // 00000000E8DC: D86C4200 5000000A
	ds_read_b32 v81, v10 offset:16960                          // 00000000E8E4: D86C4240 5100000A
	ds_read_b32 v82, v10 offset:17024                          // 00000000E8EC: D86C4280 5200000A
	ds_read_b32 v83, v10 offset:17088                          // 00000000E8F4: D86C42C0 5300000A
	ds_read_b32 v84, v10 offset:17152                          // 00000000E8FC: D86C4300 5400000A
	ds_read_b32 v85, v10 offset:17216                          // 00000000E904: D86C4340 5500000A
	ds_read_b32 v86, v10 offset:17280                          // 00000000E90C: D86C4380 5600000A
	ds_read_b32 v87, v10 offset:17344                          // 00000000E914: D86C43C0 5700000A
	ds_read_b32 v88, v10 offset:17408                          // 00000000E91C: D86C4400 5800000A
	ds_read_b32 v89, v10 offset:17472                          // 00000000E924: D86C4440 5900000A
	ds_read_b32 v90, v10 offset:17536                          // 00000000E92C: D86C4480 5A00000A
	ds_read_b32 v91, v10 offset:17600                          // 00000000E934: D86C44C0 5B00000A
	ds_read_b32 v92, v10 offset:17664                          // 00000000E93C: D86C4500 5C00000A
	ds_read_b32 v93, v10 offset:17728                          // 00000000E944: D86C4540 5D00000A
	ds_read_b32 v94, v10 offset:17792                          // 00000000E94C: D86C4580 5E00000A
	ds_read_b32 v95, v10 offset:17856                          // 00000000E954: D86C45C0 5F00000A
	buffer_load_dwordx4 a[60:63], v32, s[16:19], 0 offen offset:1024// 00000000E95C: E05C1400 80843C20
	v_cvt_f32_i32_e32 v192, v192                               // 00000000E964: 7F800BC0
	v_cvt_f32_i32_e32 v193, v193                               // 00000000E968: 7F820BC1
	v_cvt_f32_i32_e32 v194, v194                               // 00000000E96C: 7F840BC2
	v_cvt_f32_i32_e32 v195, v195                               // 00000000E970: 7F860BC3
	v_cvt_f32_i32_e32 v196, v196                               // 00000000E974: 7F880BC4
	v_cvt_f32_i32_e32 v197, v197                               // 00000000E978: 7F8A0BC5
	v_cvt_f32_i32_e32 v198, v198                               // 00000000E97C: 7F8C0BC6
	v_cvt_f32_i32_e32 v199, v199                               // 00000000E980: 7F8E0BC7
	v_mul_f32_e32 v192, v58, v192                              // 00000000E984: 0B81813A
	v_mul_f32_e32 v193, v58, v193                              // 00000000E988: 0B83833A
	v_mul_f32_e32 v194, v58, v194                              // 00000000E98C: 0B85853A
	v_mul_f32_e32 v195, v58, v195                              // 00000000E990: 0B87873A
	v_mul_f32_e32 v196, v58, v196                              // 00000000E994: 0B89893A
	v_mul_f32_e32 v197, v58, v197                              // 00000000E998: 0B8B8B3A
	v_mul_f32_e32 v198, v58, v198                              // 00000000E99C: 0B8D8D3A
	v_mul_f32_e32 v199, v58, v199                              // 00000000E9A0: 0B8F8F3A
	s_waitcnt lgkmcnt(0)                                       // 00000000E9A4: BF8CC07F
	v_max3_f32 v62, v80, v81, v62                              // 00000000E9A8: D1D3003E 04FAA350
	v_max3_f32 v62, v82, v83, v62                              // 00000000E9B0: D1D3003E 04FAA752
	v_max3_f32 v62, v84, v85, v62                              // 00000000E9B8: D1D3003E 04FAAB54
	v_max3_f32 v62, v86, v87, v62                              // 00000000E9C0: D1D3003E 04FAAF56
	v_max3_f32 v62, v88, v89, v62                              // 00000000E9C8: D1D3003E 04FAB358
	v_max3_f32 v62, v90, v91, v62                              // 00000000E9D0: D1D3003E 04FAB75A
	v_max3_f32 v62, v92, v93, v62                              // 00000000E9D8: D1D3003E 04FABB5C
	v_max3_f32 v62, v94, v95, v62                              // 00000000E9E0: D1D3003E 04FABF5E
	buffer_load_dwordx4 a[96:99], v37, s[20:23], 0 offen       // 00000000E9E8: E05C1000 80856025
	v_mov_b32_e32 v41, 0xff800000                              // 00000000E9F0: 7E5202FF FF800000
	v_cmp_eq_u32_e64 s[40:41], v41, v14                        // 00000000E9F8: D0CA0028 00021D29
	s_nop 1                                                    // 00000000EA00: BF800001
	v_max_f32_e32 v18, v62, v14                                // 00000000EA04: 16241D3E
	v_mul_f32_e32 v67, s64, v18                                // 00000000EA08: 0A862440
	v_fma_f32 v128, v128, s64, -v67                            // 00000000EA0C: D1CB0080 850C8180
	v_fma_f32 v129, v129, s64, -v67                            // 00000000EA14: D1CB0081 850C8181
	v_fma_f32 v130, v130, s64, -v67                            // 00000000EA1C: D1CB0082 850C8182
	v_fma_f32 v131, v131, s64, -v67                            // 00000000EA24: D1CB0083 850C8183
	v_fma_f32 v132, v132, s64, -v67                            // 00000000EA2C: D1CB0084 850C8184
	v_fma_f32 v133, v133, s64, -v67                            // 00000000EA34: D1CB0085 850C8185
	v_fma_f32 v134, v134, s64, -v67                            // 00000000EA3C: D1CB0086 850C8186
	v_fma_f32 v135, v135, s64, -v67                            // 00000000EA44: D1CB0087 850C8187
	v_fma_f32 v136, v136, s64, -v67                            // 00000000EA4C: D1CB0088 850C8188
	v_fma_f32 v137, v137, s64, -v67                            // 00000000EA54: D1CB0089 850C8189
	v_fma_f32 v138, v138, s64, -v67                            // 00000000EA5C: D1CB008A 850C818A
	v_fma_f32 v139, v139, s64, -v67                            // 00000000EA64: D1CB008B 850C818B
	v_fma_f32 v140, v140, s64, -v67                            // 00000000EA6C: D1CB008C 850C818C
	v_fma_f32 v141, v141, s64, -v67                            // 00000000EA74: D1CB008D 850C818D
	v_fma_f32 v142, v142, s64, -v67                            // 00000000EA7C: D1CB008E 850C818E
	v_fma_f32 v143, v143, s64, -v67                            // 00000000EA84: D1CB008F 850C818F
	buffer_load_dwordx4 a[100:103], v38, s[20:23], 0 offen     // 00000000EA8C: E05C1000 80856426
	v_exp_f32_e32 v128, v128                                   // 00000000EA94: 7F004180
	v_exp_f32_e32 v129, v129                                   // 00000000EA98: 7F024181
	v_exp_f32_e32 v130, v130                                   // 00000000EA9C: 7F044182
	v_exp_f32_e32 v131, v131                                   // 00000000EAA0: 7F064183
	v_exp_f32_e32 v132, v132                                   // 00000000EAA4: 7F084184
	v_exp_f32_e32 v133, v133                                   // 00000000EAA8: 7F0A4185
	v_exp_f32_e32 v134, v134                                   // 00000000EAAC: 7F0C4186
	v_exp_f32_e32 v135, v135                                   // 00000000EAB0: 7F0E4187
	v_exp_f32_e32 v136, v136                                   // 00000000EAB4: 7F104188
	v_exp_f32_e32 v137, v137                                   // 00000000EAB8: 7F124189
	v_exp_f32_e32 v138, v138                                   // 00000000EABC: 7F14418A
	v_exp_f32_e32 v139, v139                                   // 00000000EAC0: 7F16418B
	v_exp_f32_e32 v140, v140                                   // 00000000EAC4: 7F18418C
	v_exp_f32_e32 v141, v141                                   // 00000000EAC8: 7F1A418D
	v_exp_f32_e32 v142, v142                                   // 00000000EACC: 7F1C418E
	v_exp_f32_e32 v143, v143                                   // 00000000EAD0: 7F1E418F
	buffer_load_dwordx4 a[104:107], v39, s[20:23], 0 offen     // 00000000EAD4: E05C1000 80856827
	v_mul_f32_dpp v240, v252, v128 quad_perm:[0,0,0,0] row_mask:0xf bank_mask:0xf// 00000000EADC: 0BE100FA FF0000FC
	v_mul_f32_dpp v241, v252, v129 quad_perm:[1,1,1,1] row_mask:0xf bank_mask:0xf// 00000000EAE4: 0BE302FA FF0055FC
	v_mul_f32_dpp v242, v252, v130 quad_perm:[2,2,2,2] row_mask:0xf bank_mask:0xf// 00000000EAEC: 0BE504FA FF00AAFC
	v_mul_f32_dpp v243, v252, v131 quad_perm:[3,3,3,3] row_mask:0xf bank_mask:0xf// 00000000EAF4: 0BE706FA FF00FFFC
	v_mul_f32_dpp v244, v253, v132 quad_perm:[0,0,0,0] row_mask:0xf bank_mask:0xf// 00000000EAFC: 0BE908FA FF0000FD
	v_mul_f32_dpp v245, v253, v133 quad_perm:[1,1,1,1] row_mask:0xf bank_mask:0xf// 00000000EB04: 0BEB0AFA FF0055FD
	v_mul_f32_dpp v246, v253, v134 quad_perm:[2,2,2,2] row_mask:0xf bank_mask:0xf// 00000000EB0C: 0BED0CFA FF00AAFD
	v_mul_f32_dpp v247, v253, v135 quad_perm:[3,3,3,3] row_mask:0xf bank_mask:0xf// 00000000EB14: 0BEF0EFA FF00FFFD
	v_mul_f32_dpp v248, v254, v136 quad_perm:[0,0,0,0] row_mask:0xf bank_mask:0xf// 00000000EB1C: 0BF110FA FF0000FE
	v_mul_f32_dpp v249, v254, v137 quad_perm:[1,1,1,1] row_mask:0xf bank_mask:0xf// 00000000EB24: 0BF312FA FF0055FE
	v_mul_f32_dpp v250, v254, v138 quad_perm:[2,2,2,2] row_mask:0xf bank_mask:0xf// 00000000EB2C: 0BF514FA FF00AAFE
	v_mul_f32_dpp v251, v254, v139 quad_perm:[3,3,3,3] row_mask:0xf bank_mask:0xf// 00000000EB34: 0BF716FA FF00FFFE
	v_mul_f32_dpp v252, v255, v140 quad_perm:[0,0,0,0] row_mask:0xf bank_mask:0xf// 00000000EB3C: 0BF918FA FF0000FF
	v_mul_f32_dpp v253, v255, v141 quad_perm:[1,1,1,1] row_mask:0xf bank_mask:0xf// 00000000EB44: 0BFB1AFA FF0055FF
	v_mul_f32_dpp v254, v255, v142 quad_perm:[2,2,2,2] row_mask:0xf bank_mask:0xf// 00000000EB4C: 0BFD1CFA FF00AAFF
	v_mul_f32_dpp v255, v255, v143 quad_perm:[3,3,3,3] row_mask:0xf bank_mask:0xf// 00000000EB54: 0BFF1EFA FF00FFFF
	v_mov_b32_e32 v62, 0x358637bd                              // 00000000EB5C: 7E7C02FF 358637BD
	v_max3_f32 v62, |v240|, |v241|, v62                        // 00000000EB64: D1D3033E 04FBE3F0
	v_max3_f32 v62, |v242|, |v243|, v62                        // 00000000EB6C: D1D3033E 04FBE7F2
	v_max3_f32 v62, |v244|, |v245|, v62                        // 00000000EB74: D1D3033E 04FBEBF4
	v_max3_f32 v62, |v246|, |v247|, v62                        // 00000000EB7C: D1D3033E 04FBEFF6
	v_max3_f32 v62, |v248|, |v249|, v62                        // 00000000EB84: D1D3033E 04FBF3F8
	v_max3_f32 v62, |v250|, |v251|, v62                        // 00000000EB8C: D1D3033E 04FBF7FA
	v_max3_f32 v62, |v252|, |v253|, v62                        // 00000000EB94: D1D3033E 04FBFBFC
	v_max3_f32 v62, |v254|, |v255|, v62                        // 00000000EB9C: D1D3033E 04FBFFFE
	buffer_load_dwordx4 a[108:111], v40, s[20:23], 0 offen     // 00000000EBA4: E05C1000 80856C28
	ds_write_b32 v11, v62 offset:20992                         // 00000000EBAC: D81A5200 00003E0B
	v_sub_f32_e32 v63, v14, v18                                // 00000000EBB4: 047E250E
	v_cndmask_b32_e64 v63, v63, 0, s[40:41]                    // 00000000EBB8: D100003F 00A1013F
	v_mov_b32_e32 v14, v18                                     // 00000000EBC0: 7E1C0312
	v_mul_f32_e32 v63, s64, v63                                // 00000000EBC4: 0A7E7E40
	v_exp_f32_e32 v63, v63                                     // 00000000EBC8: 7E7E413F
	s_waitcnt lgkmcnt(0)                                       // 00000000EBCC: BF8CC07F
	s_barrier                                                  // 00000000EBD0: BF8A0000
	ds_read_b32 v80, v10 offset:20992                          // 00000000EBD4: D86C5200 5000000A
	ds_read_b32 v81, v10 offset:21056                          // 00000000EBDC: D86C5240 5100000A
	ds_read_b32 v82, v10 offset:21120                          // 00000000EBE4: D86C5280 5200000A
	ds_read_b32 v83, v10 offset:21184                          // 00000000EBEC: D86C52C0 5300000A
	ds_read_b32 v84, v10 offset:21248                          // 00000000EBF4: D86C5300 5400000A
	ds_read_b32 v85, v10 offset:21312                          // 00000000EBFC: D86C5340 5500000A
	ds_read_b32 v86, v10 offset:21376                          // 00000000EC04: D86C5380 5600000A
	ds_read_b32 v87, v10 offset:21440                          // 00000000EC0C: D86C53C0 5700000A
	ds_read_b32 v88, v10 offset:21504                          // 00000000EC14: D86C5400 5800000A
	ds_read_b32 v89, v10 offset:21568                          // 00000000EC1C: D86C5440 5900000A
	ds_read_b32 v90, v10 offset:21632                          // 00000000EC24: D86C5480 5A00000A
	ds_read_b32 v91, v10 offset:21696                          // 00000000EC2C: D86C54C0 5B00000A
	ds_read_b32 v92, v10 offset:21760                          // 00000000EC34: D86C5500 5C00000A
	ds_read_b32 v93, v10 offset:21824                          // 00000000EC3C: D86C5540 5D00000A
	ds_read_b32 v94, v10 offset:21888                          // 00000000EC44: D86C5580 5E00000A
	ds_read_b32 v95, v10 offset:21952                          // 00000000EC4C: D86C55C0 5F00000A
	v_mul_f32_e32 v47, v63, v47                                // 00000000EC54: 0A5E5F3F
	v_mov_b32_e32 v18, v128                                    // 00000000EC58: 7E240380
	v_add_f32_e32 v18, v129, v18                               // 00000000EC5C: 02242581
	v_add_f32_e32 v18, v130, v18                               // 00000000EC60: 02242582
	v_add_f32_e32 v18, v131, v18                               // 00000000EC64: 02242583
	v_add_f32_e32 v18, v132, v18                               // 00000000EC68: 02242584
	v_add_f32_e32 v18, v133, v18                               // 00000000EC6C: 02242585
	v_add_f32_e32 v18, v134, v18                               // 00000000EC70: 02242586
	v_add_f32_e32 v18, v135, v18                               // 00000000EC74: 02242587
	v_add_f32_e32 v18, v136, v18                               // 00000000EC78: 02242588
	v_add_f32_e32 v18, v137, v18                               // 00000000EC7C: 02242589
	v_add_f32_e32 v18, v138, v18                               // 00000000EC80: 0224258A
	v_add_f32_e32 v18, v139, v18                               // 00000000EC84: 0224258B
	v_add_f32_e32 v18, v140, v18                               // 00000000EC88: 0224258C
	v_add_f32_e32 v18, v141, v18                               // 00000000EC8C: 0224258D
	v_add_f32_e32 v18, v142, v18                               // 00000000EC90: 0224258E
	v_add_f32_e32 v18, v143, v18                               // 00000000EC94: 0224258F
	v_add_f32_e32 v47, v18, v47                                // 00000000EC98: 025E5F12
	s_waitcnt lgkmcnt(0)                                       // 00000000EC9C: BF8CC07F
	v_max3_f32 v62, |v80|, |v81|, v62                          // 00000000ECA0: D1D3033E 04FAA350
	v_max3_f32 v62, |v82|, |v83|, v62                          // 00000000ECA8: D1D3033E 04FAA752
	v_max3_f32 v62, |v84|, |v85|, v62                          // 00000000ECB0: D1D3033E 04FAAB54
	v_max3_f32 v62, |v86|, |v87|, v62                          // 00000000ECB8: D1D3033E 04FAAF56
	v_max3_f32 v62, |v88|, |v89|, v62                          // 00000000ECC0: D1D3033E 04FAB358
	v_max3_f32 v62, |v90|, |v91|, v62                          // 00000000ECC8: D1D3033E 04FAB75A
	v_max3_f32 v62, |v92|, |v93|, v62                          // 00000000ECD0: D1D3033E 04FABB5C
	v_max3_f32 v62, |v94|, |v95|, v62                          // 00000000ECD8: D1D3033E 04FABF5E
	s_nop 2                                                    // 00000000ECE0: BF800002
	v_rcp_f32_e32 v62, v62                                     // 00000000ECE4: 7E7C453E
	s_nop 1                                                    // 00000000ECE8: BF800001
	v_mul_f32_e32 v62, 0x42fe0000, v62                         // 00000000ECEC: 0A7C7CFF 42FE0000
	v_mul_f32_e32 v128, v62, v240                              // 00000000ECF4: 0B01E13E
	v_mul_f32_e32 v129, v62, v241                              // 00000000ECF8: 0B03E33E
	v_mul_f32_e32 v130, v62, v242                              // 00000000ECFC: 0B05E53E
	v_mul_f32_e32 v131, v62, v243                              // 00000000ED00: 0B07E73E
	v_mul_f32_e32 v132, v62, v244                              // 00000000ED04: 0B09E93E
	v_mul_f32_e32 v133, v62, v245                              // 00000000ED08: 0B0BEB3E
	v_mul_f32_e32 v134, v62, v246                              // 00000000ED0C: 0B0DED3E
	v_mul_f32_e32 v135, v62, v247                              // 00000000ED10: 0B0FEF3E
	v_mul_f32_e32 v136, v62, v248                              // 00000000ED14: 0B11F13E
	v_mul_f32_e32 v137, v62, v249                              // 00000000ED18: 0B13F33E
	v_mul_f32_e32 v138, v62, v250                              // 00000000ED1C: 0B15F53E
	v_mul_f32_e32 v139, v62, v251                              // 00000000ED20: 0B17F73E
	v_mul_f32_e32 v140, v62, v252                              // 00000000ED24: 0B19F93E
	v_mul_f32_e32 v141, v62, v253                              // 00000000ED28: 0B1BFB3E
	v_mul_f32_e32 v142, v62, v254                              // 00000000ED2C: 0B1DFD3E
	v_mul_f32_e32 v143, v62, v255                              // 00000000ED30: 0B1FFF3E
	v_cvt_i32_f32_e32 v128, v128                               // 00000000ED34: 7F001180
	v_cvt_i32_f32_e32 v129, v129                               // 00000000ED38: 7F021181
	v_cvt_i32_f32_e32 v130, v130                               // 00000000ED3C: 7F041182
	v_cvt_i32_f32_e32 v131, v131                               // 00000000ED40: 7F061183
	v_cvt_i32_f32_e32 v132, v132                               // 00000000ED44: 7F081184
	v_cvt_i32_f32_e32 v133, v133                               // 00000000ED48: 7F0A1185
	v_cvt_i32_f32_e32 v134, v134                               // 00000000ED4C: 7F0C1186
	v_cvt_i32_f32_e32 v135, v135                               // 00000000ED50: 7F0E1187
	v_cvt_i32_f32_e32 v136, v136                               // 00000000ED54: 7F101188
	v_cvt_i32_f32_e32 v137, v137                               // 00000000ED58: 7F121189
	v_cvt_i32_f32_e32 v138, v138                               // 00000000ED5C: 7F14118A
	v_cvt_i32_f32_e32 v139, v139                               // 00000000ED60: 7F16118B
	v_cvt_i32_f32_e32 v140, v140                               // 00000000ED64: 7F18118C
	v_cvt_i32_f32_e32 v141, v141                               // 00000000ED68: 7F1A118D
	v_cvt_i32_f32_e32 v142, v142                               // 00000000ED6C: 7F1C118E
	v_cvt_i32_f32_e32 v143, v143                               // 00000000ED70: 7F1E118F
	v_perm_b32 v128, v129, v128, s53                           // 00000000ED74: D1ED0080 00D70181
	v_perm_b32 v128, v130, v128, s54                           // 00000000ED7C: D1ED0080 00DB0182
	v_perm_b32 v128, v131, v128, s55                           // 00000000ED84: D1ED0080 00DF0183
	v_perm_b32 v129, v133, v132, s53                           // 00000000ED8C: D1ED0081 00D70985
	v_perm_b32 v129, v134, v129, s54                           // 00000000ED94: D1ED0081 00DB0386
	v_perm_b32 v129, v135, v129, s55                           // 00000000ED9C: D1ED0081 00DF0387
	v_perm_b32 v130, v137, v136, s53                           // 00000000EDA4: D1ED0082 00D71189
	v_perm_b32 v130, v138, v130, s54                           // 00000000EDAC: D1ED0082 00DB058A
	v_perm_b32 v130, v139, v130, s55                           // 00000000EDB4: D1ED0082 00DF058B
	v_perm_b32 v131, v141, v140, s53                           // 00000000EDBC: D1ED0083 00D7198D
	v_perm_b32 v131, v142, v131, s54                           // 00000000EDC4: D1ED0083 00DB078E
	v_perm_b32 v131, v143, v131, s55                           // 00000000EDCC: D1ED0083 00DF078F
	ds_write_b32 v13, v128 offset:25088                        // 00000000EDD4: D81A6200 0000800D
	ds_write_b32 v13, v129 offset:26112                        // 00000000EDDC: D81A6600 0000810D
	ds_write_b32 v13, v130 offset:27136                        // 00000000EDE4: D81A6A00 0000820D
	ds_write_b32 v13, v131 offset:28160                        // 00000000EDEC: D81A6E00 0000830D
	v_add_f32_e32 v224, v224, v192                             // 00000000EDF4: 03C181E0
	v_add_f32_e32 v225, v225, v193                             // 00000000EDF8: 03C383E1
	v_add_f32_e32 v226, v226, v194                             // 00000000EDFC: 03C585E2
	v_add_f32_e32 v227, v227, v195                             // 00000000EE00: 03C787E3
	v_add_f32_e32 v228, v228, v196                             // 00000000EE04: 03C989E4
	v_add_f32_e32 v229, v229, v197                             // 00000000EE08: 03CB8BE5
	v_add_f32_e32 v230, v230, v198                             // 00000000EE0C: 03CD8DE6
	v_add_f32_e32 v231, v231, v199                             // 00000000EE10: 03CF8FE7
	v_rcp_f32_e32 v58, v62                                     // 00000000EE14: 7E74453E
	s_waitcnt lgkmcnt(0)                                       // 00000000EE18: BF8CC07F
	s_barrier                                                  // 00000000EE1C: BF8A0000
	ds_read_b64 v[128:129], v12 offset:25088                   // 00000000EE20: D8EC6200 8000000C
	ds_read_b64 v[130:131], v12 offset:25216                   // 00000000EE28: D8EC6280 8200000C
	ds_read_b64 v[132:133], v12 offset:26112                   // 00000000EE30: D8EC6600 8400000C
	ds_read_b64 v[134:135], v12 offset:26240                   // 00000000EE38: D8EC6680 8600000C
	ds_read_b64 v[136:137], v12 offset:27136                   // 00000000EE40: D8EC6A00 8800000C
	ds_read_b64 v[138:139], v12 offset:27264                   // 00000000EE48: D8EC6A80 8A00000C
	ds_read_b64 v[140:141], v12 offset:28160                   // 00000000EE50: D8EC6E00 8C00000C
	ds_read_b64 v[142:143], v12 offset:28288                   // 00000000EE58: D8EC6E80 8E00000C
	v_mov_b32_dpp v41, v52 row_shr:4 row_mask:0xf bank_mask:0xf// 00000000EE60: 7E5202FA FF011434
	v_mov_b32_dpp v42, v52 row_shl:4 row_mask:0xf bank_mask:0xf// 00000000EE68: 7E5402FA FF010434
	v_cndmask_b32_e64 v248, v52, v41, s[44:45]                 // 00000000EE70: D10000F8 00B25334
	v_cndmask_b32_e64 v249, v42, v52, s[44:45]                 // 00000000EE78: D10000F9 00B2692A
	v_mov_b32_dpp v41, v248 row_shr:8 row_mask:0xf bank_mask:0xf// 00000000EE80: 7E5202FA FF0118F8
	v_mov_b32_dpp v42, v248 row_shl:8 row_mask:0xf bank_mask:0xf// 00000000EE88: 7E5402FA FF0108F8
	v_mov_b32_dpp v43, v249 row_shr:8 row_mask:0xf bank_mask:0xf// 00000000EE90: 7E5602FA FF0118F9
	v_mov_b32_dpp v44, v249 row_shl:8 row_mask:0xf bank_mask:0xf// 00000000EE98: 7E5802FA FF0108F9
	v_mov_b32_e32 v45, v248                                    // 00000000EEA0: 7E5A03F8
	v_mov_b32_e32 v46, v249                                    // 00000000EEA4: 7E5C03F9
	v_cndmask_b32_e64 v248, v45, v41, s[42:43]                 // 00000000EEA8: D10000F8 00AA532D
	v_cndmask_b32_e64 v250, v45, v42, s[78:79]                 // 00000000EEB0: D10000FA 013A552D
	v_cndmask_b32_e64 v249, v46, v43, s[42:43]                 // 00000000EEB8: D10000F9 00AA572E
	v_cndmask_b32_e64 v251, v46, v44, s[78:79]                 // 00000000EEC0: D10000FB 013A592E
	v_mov_b32_dpp v41, v72 row_shr:4 row_mask:0xf bank_mask:0xf// 00000000EEC8: 7E5202FA FF011448
	v_mov_b32_dpp v42, v72 row_shl:4 row_mask:0xf bank_mask:0xf// 00000000EED0: 7E5402FA FF010448
	v_cndmask_b32_e64 v252, v72, v41, s[44:45]                 // 00000000EED8: D10000FC 00B25348
	v_cndmask_b32_e64 v253, v42, v72, s[44:45]                 // 00000000EEE0: D10000FD 00B2912A
	v_mov_b32_dpp v41, v252 row_shr:8 row_mask:0xf bank_mask:0xf// 00000000EEE8: 7E5202FA FF0118FC
	v_mov_b32_dpp v42, v252 row_shl:8 row_mask:0xf bank_mask:0xf// 00000000EEF0: 7E5402FA FF0108FC
	v_mov_b32_dpp v43, v253 row_shr:8 row_mask:0xf bank_mask:0xf// 00000000EEF8: 7E5602FA FF0118FD
	v_mov_b32_dpp v44, v253 row_shl:8 row_mask:0xf bank_mask:0xf// 00000000EF00: 7E5802FA FF0108FD
	v_mov_b32_e32 v45, v252                                    // 00000000EF08: 7E5A03FC
	v_mov_b32_e32 v46, v253                                    // 00000000EF0C: 7E5C03FD
	v_cndmask_b32_e64 v252, v45, v41, s[42:43]                 // 00000000EF10: D10000FC 00AA532D
	v_cndmask_b32_e64 v254, v45, v42, s[78:79]                 // 00000000EF18: D10000FE 013A552D
	v_cndmask_b32_e64 v253, v46, v43, s[42:43]                 // 00000000EF20: D10000FD 00AA572E
	v_cndmask_b32_e64 v255, v46, v44, s[78:79]                 // 00000000EF28: D10000FF 013A592E
	v_cvt_f32_i32_e32 v144, v144                               // 00000000EF30: 7F200B90
	v_cvt_f32_i32_e32 v145, v145                               // 00000000EF34: 7F220B91
	v_cvt_f32_i32_e32 v146, v146                               // 00000000EF38: 7F240B92
	v_cvt_f32_i32_e32 v147, v147                               // 00000000EF3C: 7F260B93
	v_cvt_f32_i32_e32 v148, v148                               // 00000000EF40: 7F280B94
	v_cvt_f32_i32_e32 v149, v149                               // 00000000EF44: 7F2A0B95
	v_cvt_f32_i32_e32 v150, v150                               // 00000000EF48: 7F2C0B96
	v_cvt_f32_i32_e32 v151, v151                               // 00000000EF4C: 7F2E0B97
	v_cvt_f32_i32_e32 v152, v152                               // 00000000EF50: 7F300B98
	v_cvt_f32_i32_e32 v153, v153                               // 00000000EF54: 7F320B99
	v_cvt_f32_i32_e32 v154, v154                               // 00000000EF58: 7F340B9A
	v_cvt_f32_i32_e32 v155, v155                               // 00000000EF5C: 7F360B9B
	v_cvt_f32_i32_e32 v156, v156                               // 00000000EF60: 7F380B9C
	v_cvt_f32_i32_e32 v157, v157                               // 00000000EF64: 7F3A0B9D
	v_cvt_f32_i32_e32 v158, v158                               // 00000000EF68: 7F3C0B9E
	v_cvt_f32_i32_e32 v159, v159                               // 00000000EF6C: 7F3E0B9F
	v_mul_f32_e32 v144, v55, v144                              // 00000000EF70: 0B212137
	v_mul_f32_e32 v145, v55, v145                              // 00000000EF74: 0B232337
	v_mul_f32_e32 v146, v55, v146                              // 00000000EF78: 0B252537
	v_mul_f32_e32 v147, v55, v147                              // 00000000EF7C: 0B272737
	v_mul_f32_e32 v148, v55, v148                              // 00000000EF80: 0B292937
	v_mul_f32_e32 v149, v55, v149                              // 00000000EF84: 0B2B2B37
	v_mul_f32_e32 v150, v55, v150                              // 00000000EF88: 0B2D2D37
	v_mul_f32_e32 v151, v55, v151                              // 00000000EF8C: 0B2F2F37
	v_mul_f32_e32 v152, v55, v152                              // 00000000EF90: 0B313137
	v_mul_f32_e32 v153, v55, v153                              // 00000000EF94: 0B333337
	v_mul_f32_e32 v154, v55, v154                              // 00000000EF98: 0B353537
	v_mul_f32_e32 v155, v55, v155                              // 00000000EF9C: 0B373737
	v_mul_f32_e32 v156, v55, v156                              // 00000000EFA0: 0B393937
	v_mul_f32_e32 v157, v55, v157                              // 00000000EFA4: 0B3B3B37
	v_mul_f32_e32 v158, v55, v158                              // 00000000EFA8: 0B3D3D37
	v_mul_f32_e32 v159, v55, v159                              // 00000000EFAC: 0B3F3F37
	v_mul_f32_dpp v144, v248, v144 quad_perm:[0,0,0,0] row_mask:0xf bank_mask:0xf// 00000000EFB0: 0B2120FA FF0000F8
	v_mul_f32_dpp v145, v248, v145 quad_perm:[1,1,1,1] row_mask:0xf bank_mask:0xf// 00000000EFB8: 0B2322FA FF0055F8
	v_mul_f32_dpp v146, v248, v146 quad_perm:[2,2,2,2] row_mask:0xf bank_mask:0xf// 00000000EFC0: 0B2524FA FF00AAF8
	v_mul_f32_dpp v147, v248, v147 quad_perm:[3,3,3,3] row_mask:0xf bank_mask:0xf// 00000000EFC8: 0B2726FA FF00FFF8
	v_mul_f32_dpp v148, v249, v148 quad_perm:[0,0,0,0] row_mask:0xf bank_mask:0xf// 00000000EFD0: 0B2928FA FF0000F9
	v_mul_f32_dpp v149, v249, v149 quad_perm:[1,1,1,1] row_mask:0xf bank_mask:0xf// 00000000EFD8: 0B2B2AFA FF0055F9
	v_mul_f32_dpp v150, v249, v150 quad_perm:[2,2,2,2] row_mask:0xf bank_mask:0xf// 00000000EFE0: 0B2D2CFA FF00AAF9
	v_mul_f32_dpp v151, v249, v151 quad_perm:[3,3,3,3] row_mask:0xf bank_mask:0xf// 00000000EFE8: 0B2F2EFA FF00FFF9
	v_mul_f32_dpp v152, v250, v152 quad_perm:[0,0,0,0] row_mask:0xf bank_mask:0xf// 00000000EFF0: 0B3130FA FF0000FA
	v_mul_f32_dpp v153, v250, v153 quad_perm:[1,1,1,1] row_mask:0xf bank_mask:0xf// 00000000EFF8: 0B3332FA FF0055FA
	v_mul_f32_dpp v154, v250, v154 quad_perm:[2,2,2,2] row_mask:0xf bank_mask:0xf// 00000000F000: 0B3534FA FF00AAFA
	v_mul_f32_dpp v155, v250, v155 quad_perm:[3,3,3,3] row_mask:0xf bank_mask:0xf// 00000000F008: 0B3736FA FF00FFFA
	v_mul_f32_dpp v156, v251, v156 quad_perm:[0,0,0,0] row_mask:0xf bank_mask:0xf// 00000000F010: 0B3938FA FF0000FB
	v_mul_f32_dpp v157, v251, v157 quad_perm:[1,1,1,1] row_mask:0xf bank_mask:0xf// 00000000F018: 0B3B3AFA FF0055FB
	v_mul_f32_dpp v158, v251, v158 quad_perm:[2,2,2,2] row_mask:0xf bank_mask:0xf// 00000000F020: 0B3D3CFA FF00AAFB
	v_mul_f32_dpp v159, v251, v159 quad_perm:[3,3,3,3] row_mask:0xf bank_mask:0xf// 00000000F028: 0B3F3EFA FF00FFFB
	s_cmp_le_i32 s90, s89                                      // 00000000F030: BF05595A
	s_cbranch_scc1 label_3401                                  // 00000000F034: BF850073
	v_mov_b32_e32 v69, 0xff800000                              // 00000000F038: 7E8A02FF FF800000
	s_mov_b32 s60, s90                                         // 00000000F040: BEBC005A
	s_add_u32 s61, s89, 0xff                                   // 00000000F044: 803DFF59 000000FF
	v_mov_b32_e32 v41, s61                                     // 00000000F04C: 7E52023D
	v_lshrrev_b32_e32 v240, 4, v0                              // 00000000F050: 21E00084
	v_mul_i32_i24_e32 v240, 4, v240                            // 00000000F054: 0DE1E084
	v_add_u32_e32 v240, s60, v240                              // 00000000F058: 69E1E03C
	v_and_b32_e32 v42, 15, v0                                  // 00000000F05C: 2654008F
	v_lshrrev_b32_e32 v42, 3, v42                              // 00000000F060: 20545483
	s_mov_b32 s61, 2                                           // 00000000F064: BEBD0082
	s_mul_i32 s60, 16, s7                                      // 00000000F068: 923C0790
	v_add_u32_e32 v42, s61, v42                                // 00000000F06C: 6854543D
	v_sub_u32_e32 v240, v240, v42                              // 00000000F070: 6BE055F0
	v_add_u32_e32 v240, s60, v240                              // 00000000F074: 69E1E03C
	v_add_u32_e32 v241, 1, v240                                // 00000000F078: 69E3E081
	v_add_u32_e32 v242, 2, v240                                // 00000000F07C: 69E5E082
	v_add_u32_e32 v243, 3, v240                                // 00000000F080: 69E7E083
	v_cmp_le_u32_e64 s[40:41], v240, v41                       // 00000000F084: D0CB0028 000253F0
	v_add_u32_e32 v240, 64, v240                               // 00000000F08C: 69E1E0C0
	s_nop 0                                                    // 00000000F090: BF800000
	v_cndmask_b32_e64 v144, v69, v144, s[40:41]                // 00000000F094: D1000090 00A32145
	v_cmp_le_u32_e64 s[40:41], v241, v41                       // 00000000F09C: D0CB0028 000253F1
	v_add_u32_e32 v241, 64, v241                               // 00000000F0A4: 69E3E2C0
	s_nop 0                                                    // 00000000F0A8: BF800000
	v_cndmask_b32_e64 v145, v69, v145, s[40:41]                // 00000000F0AC: D1000091 00A32345
	v_cmp_le_u32_e64 s[40:41], v242, v41                       // 00000000F0B4: D0CB0028 000253F2
	v_add_u32_e32 v242, 64, v242                               // 00000000F0BC: 69E5E4C0
	s_nop 0                                                    // 00000000F0C0: BF800000
	v_cndmask_b32_e64 v146, v69, v146, s[40:41]                // 00000000F0C4: D1000092 00A32545
	v_cmp_le_u32_e64 s[40:41], v243, v41                       // 00000000F0CC: D0CB0028 000253F3
	v_add_u32_e32 v243, 64, v243                               // 00000000F0D4: 69E7E6C0
	s_nop 0                                                    // 00000000F0D8: BF800000
	v_cndmask_b32_e64 v147, v69, v147, s[40:41]                // 00000000F0DC: D1000093 00A32745
	v_cmp_le_u32_e64 s[40:41], v240, v41                       // 00000000F0E4: D0CB0028 000253F0
	v_add_u32_e32 v240, 64, v240                               // 00000000F0EC: 69E1E0C0
	s_nop 0                                                    // 00000000F0F0: BF800000
	v_cndmask_b32_e64 v148, v69, v148, s[40:41]                // 00000000F0F4: D1000094 00A32945
	v_cmp_le_u32_e64 s[40:41], v241, v41                       // 00000000F0FC: D0CB0028 000253F1
	v_add_u32_e32 v241, 64, v241                               // 00000000F104: 69E3E2C0
	s_nop 0                                                    // 00000000F108: BF800000
	v_cndmask_b32_e64 v149, v69, v149, s[40:41]                // 00000000F10C: D1000095 00A32B45
	v_cmp_le_u32_e64 s[40:41], v242, v41                       // 00000000F114: D0CB0028 000253F2
	v_add_u32_e32 v242, 64, v242                               // 00000000F11C: 69E5E4C0
	s_nop 0                                                    // 00000000F120: BF800000
	v_cndmask_b32_e64 v150, v69, v150, s[40:41]                // 00000000F124: D1000096 00A32D45
	v_cmp_le_u32_e64 s[40:41], v243, v41                       // 00000000F12C: D0CB0028 000253F3
	v_add_u32_e32 v243, 64, v243                               // 00000000F134: 69E7E6C0
	s_nop 0                                                    // 00000000F138: BF800000
	v_cndmask_b32_e64 v151, v69, v151, s[40:41]                // 00000000F13C: D1000097 00A32F45
	v_cmp_le_u32_e64 s[40:41], v240, v41                       // 00000000F144: D0CB0028 000253F0
	v_add_u32_e32 v240, 64, v240                               // 00000000F14C: 69E1E0C0
	s_nop 0                                                    // 00000000F150: BF800000
	v_cndmask_b32_e64 v152, v69, v152, s[40:41]                // 00000000F154: D1000098 00A33145
	v_cmp_le_u32_e64 s[40:41], v241, v41                       // 00000000F15C: D0CB0028 000253F1
	v_add_u32_e32 v241, 64, v241                               // 00000000F164: 69E3E2C0
	s_nop 0                                                    // 00000000F168: BF800000
	v_cndmask_b32_e64 v153, v69, v153, s[40:41]                // 00000000F16C: D1000099 00A33345
	v_cmp_le_u32_e64 s[40:41], v242, v41                       // 00000000F174: D0CB0028 000253F2
	v_add_u32_e32 v242, 64, v242                               // 00000000F17C: 69E5E4C0
	s_nop 0                                                    // 00000000F180: BF800000
	v_cndmask_b32_e64 v154, v69, v154, s[40:41]                // 00000000F184: D100009A 00A33545
	v_cmp_le_u32_e64 s[40:41], v243, v41                       // 00000000F18C: D0CB0028 000253F3
	v_add_u32_e32 v243, 64, v243                               // 00000000F194: 69E7E6C0
	s_nop 0                                                    // 00000000F198: BF800000
	v_cndmask_b32_e64 v155, v69, v155, s[40:41]                // 00000000F19C: D100009B 00A33745
	v_cmp_le_u32_e64 s[40:41], v240, v41                       // 00000000F1A4: D0CB0028 000253F0
	v_add_u32_e32 v240, 64, v240                               // 00000000F1AC: 69E1E0C0
	s_nop 0                                                    // 00000000F1B0: BF800000
	v_cndmask_b32_e64 v156, v69, v156, s[40:41]                // 00000000F1B4: D100009C 00A33945
	v_cmp_le_u32_e64 s[40:41], v241, v41                       // 00000000F1BC: D0CB0028 000253F1
	v_add_u32_e32 v241, 64, v241                               // 00000000F1C4: 69E3E2C0
	s_nop 0                                                    // 00000000F1C8: BF800000
	v_cndmask_b32_e64 v157, v69, v157, s[40:41]                // 00000000F1CC: D100009D 00A33B45
	v_cmp_le_u32_e64 s[40:41], v242, v41                       // 00000000F1D4: D0CB0028 000253F2
	v_add_u32_e32 v242, 64, v242                               // 00000000F1DC: 69E5E4C0
	s_nop 0                                                    // 00000000F1E0: BF800000
	v_cndmask_b32_e64 v158, v69, v158, s[40:41]                // 00000000F1E4: D100009E 00A33D45
	v_cmp_le_u32_e64 s[40:41], v243, v41                       // 00000000F1EC: D0CB0028 000253F3
	v_add_u32_e32 v243, 64, v243                               // 00000000F1F4: 69E7E6C0
	s_nop 0                                                    // 00000000F1F8: BF800000
	v_cndmask_b32_e64 v159, v69, v159, s[40:41]                // 00000000F1FC: D100009F 00A33F45

000000000000f204 <label_3401>:
	s_add_u32 s90, s91, s90                                    // 00000000F204: 805A5A5B
	v_mov_b32_e32 v62, v144                                    // 00000000F208: 7E7C0390
	v_max3_f32 v62, v144, v145, v62                            // 00000000F20C: D1D3003E 04FB2390
	v_max3_f32 v62, v146, v147, v62                            // 00000000F214: D1D3003E 04FB2792
	v_max3_f32 v62, v148, v149, v62                            // 00000000F21C: D1D3003E 04FB2B94
	v_max3_f32 v62, v150, v151, v62                            // 00000000F224: D1D3003E 04FB2F96
	v_max3_f32 v62, v152, v153, v62                            // 00000000F22C: D1D3003E 04FB3398
	v_max3_f32 v62, v154, v155, v62                            // 00000000F234: D1D3003E 04FB379A
	v_max3_f32 v62, v156, v157, v62                            // 00000000F23C: D1D3003E 04FB3B9C
	v_max3_f32 v62, v158, v159, v62                            // 00000000F244: D1D3003E 04FB3F9E
	ds_write_b32 v11, v62 offset:16896                         // 00000000F24C: D81A4200 00003E0B
	v_mul_f32_e32 v232, v64, v232                              // 00000000F254: 0BD1D140
	v_mul_f32_e32 v233, v64, v233                              // 00000000F258: 0BD3D340
	v_mul_f32_e32 v234, v64, v234                              // 00000000F25C: 0BD5D540
	v_mul_f32_e32 v235, v64, v235                              // 00000000F260: 0BD7D740
	v_mul_f32_e32 v236, v64, v236                              // 00000000F264: 0BD9D940
	v_mul_f32_e32 v237, v64, v237                              // 00000000F268: 0BDBDB40
	v_mul_f32_e32 v238, v64, v238                              // 00000000F26C: 0BDDDD40
	v_mul_f32_e32 v239, v64, v239                              // 00000000F270: 0BDFDF40
	s_waitcnt lgkmcnt(0)                                       // 00000000F274: BF8CC07F
	s_barrier                                                  // 00000000F278: BF8A0000
	ds_read_b32 v80, v10 offset:16896                          // 00000000F27C: D86C4200 5000000A
	ds_read_b32 v81, v10 offset:16960                          // 00000000F284: D86C4240 5100000A
	ds_read_b32 v82, v10 offset:17024                          // 00000000F28C: D86C4280 5200000A
	ds_read_b32 v83, v10 offset:17088                          // 00000000F294: D86C42C0 5300000A
	ds_read_b32 v84, v10 offset:17152                          // 00000000F29C: D86C4300 5400000A
	ds_read_b32 v85, v10 offset:17216                          // 00000000F2A4: D86C4340 5500000A
	ds_read_b32 v86, v10 offset:17280                          // 00000000F2AC: D86C4380 5600000A
	ds_read_b32 v87, v10 offset:17344                          // 00000000F2B4: D86C43C0 5700000A
	ds_read_b32 v88, v10 offset:17408                          // 00000000F2BC: D86C4400 5800000A
	ds_read_b32 v89, v10 offset:17472                          // 00000000F2C4: D86C4440 5900000A
	ds_read_b32 v90, v10 offset:17536                          // 00000000F2CC: D86C4480 5A00000A
	ds_read_b32 v91, v10 offset:17600                          // 00000000F2D4: D86C44C0 5B00000A
	ds_read_b32 v92, v10 offset:17664                          // 00000000F2DC: D86C4500 5C00000A
	ds_read_b32 v93, v10 offset:17728                          // 00000000F2E4: D86C4540 5D00000A
	ds_read_b32 v94, v10 offset:17792                          // 00000000F2EC: D86C4580 5E00000A
	ds_read_b32 v95, v10 offset:17856                          // 00000000F2F4: D86C45C0 5F00000A
	v_cvt_f32_i32_e32 v200, v200                               // 00000000F2FC: 7F900BC8
	v_cvt_f32_i32_e32 v201, v201                               // 00000000F300: 7F920BC9
	v_cvt_f32_i32_e32 v202, v202                               // 00000000F304: 7F940BCA
	v_cvt_f32_i32_e32 v203, v203                               // 00000000F308: 7F960BCB
	v_cvt_f32_i32_e32 v204, v204                               // 00000000F30C: 7F980BCC
	v_cvt_f32_i32_e32 v205, v205                               // 00000000F310: 7F9A0BCD
	v_cvt_f32_i32_e32 v206, v206                               // 00000000F314: 7F9C0BCE
	v_cvt_f32_i32_e32 v207, v207                               // 00000000F318: 7F9E0BCF
	v_mul_f32_e32 v200, v59, v200                              // 00000000F31C: 0B91913B
	v_mul_f32_e32 v201, v59, v201                              // 00000000F320: 0B93933B
	v_mul_f32_e32 v202, v59, v202                              // 00000000F324: 0B95953B
	v_mul_f32_e32 v203, v59, v203                              // 00000000F328: 0B97973B
	v_mul_f32_e32 v204, v59, v204                              // 00000000F32C: 0B99993B
	v_mul_f32_e32 v205, v59, v205                              // 00000000F330: 0B9B9B3B
	v_mul_f32_e32 v206, v59, v206                              // 00000000F334: 0B9D9D3B
	v_mul_f32_e32 v207, v59, v207                              // 00000000F338: 0B9F9F3B
	s_waitcnt lgkmcnt(0)                                       // 00000000F33C: BF8CC07F
	v_max3_f32 v62, v80, v81, v62                              // 00000000F340: D1D3003E 04FAA350
	v_max3_f32 v62, v82, v83, v62                              // 00000000F348: D1D3003E 04FAA752
	v_max3_f32 v62, v84, v85, v62                              // 00000000F350: D1D3003E 04FAAB54
	v_max3_f32 v62, v86, v87, v62                              // 00000000F358: D1D3003E 04FAAF56
	v_max3_f32 v62, v88, v89, v62                              // 00000000F360: D1D3003E 04FAB358
	v_max3_f32 v62, v90, v91, v62                              // 00000000F368: D1D3003E 04FAB75A
	v_max3_f32 v62, v92, v93, v62                              // 00000000F370: D1D3003E 04FABB5C
	v_max3_f32 v62, v94, v95, v62                              // 00000000F378: D1D3003E 04FABF5E
	v_mov_b32_e32 v41, 0xff800000                              // 00000000F380: 7E5202FF FF800000
	v_cmp_eq_u32_e64 s[40:41], v41, v15                        // 00000000F388: D0CA0028 00021F29
	s_nop 1                                                    // 00000000F390: BF800001
	v_max_f32_e32 v18, v62, v15                                // 00000000F394: 16241F3E
	v_mul_f32_e32 v67, s64, v18                                // 00000000F398: 0A862440
	v_fma_f32 v144, v144, s64, -v67                            // 00000000F39C: D1CB0090 850C8190
	v_fma_f32 v145, v145, s64, -v67                            // 00000000F3A4: D1CB0091 850C8191
	v_fma_f32 v146, v146, s64, -v67                            // 00000000F3AC: D1CB0092 850C8192
	v_fma_f32 v147, v147, s64, -v67                            // 00000000F3B4: D1CB0093 850C8193
	v_fma_f32 v148, v148, s64, -v67                            // 00000000F3BC: D1CB0094 850C8194
	v_fma_f32 v149, v149, s64, -v67                            // 00000000F3C4: D1CB0095 850C8195
	v_fma_f32 v150, v150, s64, -v67                            // 00000000F3CC: D1CB0096 850C8196
	v_fma_f32 v151, v151, s64, -v67                            // 00000000F3D4: D1CB0097 850C8197
	v_fma_f32 v152, v152, s64, -v67                            // 00000000F3DC: D1CB0098 850C8198
	v_fma_f32 v153, v153, s64, -v67                            // 00000000F3E4: D1CB0099 850C8199
	v_fma_f32 v154, v154, s64, -v67                            // 00000000F3EC: D1CB009A 850C819A
	v_fma_f32 v155, v155, s64, -v67                            // 00000000F3F4: D1CB009B 850C819B
	v_fma_f32 v156, v156, s64, -v67                            // 00000000F3FC: D1CB009C 850C819C
	v_fma_f32 v157, v157, s64, -v67                            // 00000000F404: D1CB009D 850C819D
	v_fma_f32 v158, v158, s64, -v67                            // 00000000F40C: D1CB009E 850C819E
	v_fma_f32 v159, v159, s64, -v67                            // 00000000F414: D1CB009F 850C819F
	v_exp_f32_e32 v144, v144                                   // 00000000F41C: 7F204190
	v_exp_f32_e32 v145, v145                                   // 00000000F420: 7F224191
	v_exp_f32_e32 v146, v146                                   // 00000000F424: 7F244192
	v_exp_f32_e32 v147, v147                                   // 00000000F428: 7F264193
	v_exp_f32_e32 v148, v148                                   // 00000000F42C: 7F284194
	v_exp_f32_e32 v149, v149                                   // 00000000F430: 7F2A4195
	v_exp_f32_e32 v150, v150                                   // 00000000F434: 7F2C4196
	v_exp_f32_e32 v151, v151                                   // 00000000F438: 7F2E4197
	v_exp_f32_e32 v152, v152                                   // 00000000F43C: 7F304198
	v_exp_f32_e32 v153, v153                                   // 00000000F440: 7F324199
	v_exp_f32_e32 v154, v154                                   // 00000000F444: 7F34419A
	v_exp_f32_e32 v155, v155                                   // 00000000F448: 7F36419B
	v_exp_f32_e32 v156, v156                                   // 00000000F44C: 7F38419C
	v_exp_f32_e32 v157, v157                                   // 00000000F450: 7F3A419D
	v_exp_f32_e32 v158, v158                                   // 00000000F454: 7F3C419E
	v_exp_f32_e32 v159, v159                                   // 00000000F458: 7F3E419F
	v_mul_f32_dpp v240, v252, v144 quad_perm:[0,0,0,0] row_mask:0xf bank_mask:0xf// 00000000F45C: 0BE120FA FF0000FC
	v_mul_f32_dpp v241, v252, v145 quad_perm:[1,1,1,1] row_mask:0xf bank_mask:0xf// 00000000F464: 0BE322FA FF0055FC
	v_mul_f32_dpp v242, v252, v146 quad_perm:[2,2,2,2] row_mask:0xf bank_mask:0xf// 00000000F46C: 0BE524FA FF00AAFC
	v_mul_f32_dpp v243, v252, v147 quad_perm:[3,3,3,3] row_mask:0xf bank_mask:0xf// 00000000F474: 0BE726FA FF00FFFC
	v_mul_f32_dpp v244, v253, v148 quad_perm:[0,0,0,0] row_mask:0xf bank_mask:0xf// 00000000F47C: 0BE928FA FF0000FD
	v_mul_f32_dpp v245, v253, v149 quad_perm:[1,1,1,1] row_mask:0xf bank_mask:0xf// 00000000F484: 0BEB2AFA FF0055FD
	v_mul_f32_dpp v246, v253, v150 quad_perm:[2,2,2,2] row_mask:0xf bank_mask:0xf// 00000000F48C: 0BED2CFA FF00AAFD
	v_mul_f32_dpp v247, v253, v151 quad_perm:[3,3,3,3] row_mask:0xf bank_mask:0xf// 00000000F494: 0BEF2EFA FF00FFFD
	v_mul_f32_dpp v248, v254, v152 quad_perm:[0,0,0,0] row_mask:0xf bank_mask:0xf// 00000000F49C: 0BF130FA FF0000FE
	v_mul_f32_dpp v249, v254, v153 quad_perm:[1,1,1,1] row_mask:0xf bank_mask:0xf// 00000000F4A4: 0BF332FA FF0055FE
	v_mul_f32_dpp v250, v254, v154 quad_perm:[2,2,2,2] row_mask:0xf bank_mask:0xf// 00000000F4AC: 0BF534FA FF00AAFE
	v_mul_f32_dpp v251, v254, v155 quad_perm:[3,3,3,3] row_mask:0xf bank_mask:0xf// 00000000F4B4: 0BF736FA FF00FFFE
	v_mul_f32_dpp v252, v255, v156 quad_perm:[0,0,0,0] row_mask:0xf bank_mask:0xf// 00000000F4BC: 0BF938FA FF0000FF
	v_mul_f32_dpp v253, v255, v157 quad_perm:[1,1,1,1] row_mask:0xf bank_mask:0xf// 00000000F4C4: 0BFB3AFA FF0055FF
	v_mul_f32_dpp v254, v255, v158 quad_perm:[2,2,2,2] row_mask:0xf bank_mask:0xf// 00000000F4CC: 0BFD3CFA FF00AAFF
	v_mul_f32_dpp v255, v255, v159 quad_perm:[3,3,3,3] row_mask:0xf bank_mask:0xf// 00000000F4D4: 0BFF3EFA FF00FFFF
	v_mov_b32_e32 v62, 0x358637bd                              // 00000000F4DC: 7E7C02FF 358637BD
	v_max3_f32 v62, |v240|, |v241|, v62                        // 00000000F4E4: D1D3033E 04FBE3F0
	v_max3_f32 v62, |v242|, |v243|, v62                        // 00000000F4EC: D1D3033E 04FBE7F2
	v_max3_f32 v62, |v244|, |v245|, v62                        // 00000000F4F4: D1D3033E 04FBEBF4
	v_max3_f32 v62, |v246|, |v247|, v62                        // 00000000F4FC: D1D3033E 04FBEFF6
	v_max3_f32 v62, |v248|, |v249|, v62                        // 00000000F504: D1D3033E 04FBF3F8
	v_max3_f32 v62, |v250|, |v251|, v62                        // 00000000F50C: D1D3033E 04FBF7FA
	v_max3_f32 v62, |v252|, |v253|, v62                        // 00000000F514: D1D3033E 04FBFBFC
	v_max3_f32 v62, |v254|, |v255|, v62                        // 00000000F51C: D1D3033E 04FBFFFE
	ds_write_b32 v11, v62 offset:20992                         // 00000000F524: D81A5200 00003E0B
	v_sub_f32_e32 v64, v15, v18                                // 00000000F52C: 0480250F
	v_cndmask_b32_e64 v64, v64, 0, s[40:41]                    // 00000000F530: D1000040 00A10140
	v_mov_b32_e32 v15, v18                                     // 00000000F538: 7E1E0312
	v_mul_f32_e32 v64, s64, v64                                // 00000000F53C: 0A808040
	v_exp_f32_e32 v64, v64                                     // 00000000F540: 7E804140
	s_waitcnt lgkmcnt(0)                                       // 00000000F544: BF8CC07F
	s_barrier                                                  // 00000000F548: BF8A0000
	ds_read_b32 v80, v10 offset:20992                          // 00000000F54C: D86C5200 5000000A
	ds_read_b32 v81, v10 offset:21056                          // 00000000F554: D86C5240 5100000A
	ds_read_b32 v82, v10 offset:21120                          // 00000000F55C: D86C5280 5200000A
	ds_read_b32 v83, v10 offset:21184                          // 00000000F564: D86C52C0 5300000A
	ds_read_b32 v84, v10 offset:21248                          // 00000000F56C: D86C5300 5400000A
	ds_read_b32 v85, v10 offset:21312                          // 00000000F574: D86C5340 5500000A
	ds_read_b32 v86, v10 offset:21376                          // 00000000F57C: D86C5380 5600000A
	ds_read_b32 v87, v10 offset:21440                          // 00000000F584: D86C53C0 5700000A
	ds_read_b32 v88, v10 offset:21504                          // 00000000F58C: D86C5400 5800000A
	ds_read_b32 v89, v10 offset:21568                          // 00000000F594: D86C5440 5900000A
	ds_read_b32 v90, v10 offset:21632                          // 00000000F59C: D86C5480 5A00000A
	ds_read_b32 v91, v10 offset:21696                          // 00000000F5A4: D86C54C0 5B00000A
	ds_read_b32 v92, v10 offset:21760                          // 00000000F5AC: D86C5500 5C00000A
	ds_read_b32 v93, v10 offset:21824                          // 00000000F5B4: D86C5540 5D00000A
	ds_read_b32 v94, v10 offset:21888                          // 00000000F5BC: D86C5580 5E00000A
	ds_read_b32 v95, v10 offset:21952                          // 00000000F5C4: D86C55C0 5F00000A
	v_mul_f32_e32 v48, v64, v48                                // 00000000F5CC: 0A606140
	v_mov_b32_e32 v18, v144                                    // 00000000F5D0: 7E240390
	v_add_f32_e32 v18, v145, v18                               // 00000000F5D4: 02242591
	v_add_f32_e32 v18, v146, v18                               // 00000000F5D8: 02242592
	v_add_f32_e32 v18, v147, v18                               // 00000000F5DC: 02242593
	v_add_f32_e32 v18, v148, v18                               // 00000000F5E0: 02242594
	v_add_f32_e32 v18, v149, v18                               // 00000000F5E4: 02242595
	v_add_f32_e32 v18, v150, v18                               // 00000000F5E8: 02242596
	v_add_f32_e32 v18, v151, v18                               // 00000000F5EC: 02242597
	v_add_f32_e32 v18, v152, v18                               // 00000000F5F0: 02242598
	v_add_f32_e32 v18, v153, v18                               // 00000000F5F4: 02242599
	v_add_f32_e32 v18, v154, v18                               // 00000000F5F8: 0224259A
	v_add_f32_e32 v18, v155, v18                               // 00000000F5FC: 0224259B
	v_add_f32_e32 v18, v156, v18                               // 00000000F600: 0224259C
	v_add_f32_e32 v18, v157, v18                               // 00000000F604: 0224259D
	v_add_f32_e32 v18, v158, v18                               // 00000000F608: 0224259E
	v_add_f32_e32 v18, v159, v18                               // 00000000F60C: 0224259F
	v_add_f32_e32 v48, v18, v48                                // 00000000F610: 02606112
	s_waitcnt lgkmcnt(0)                                       // 00000000F614: BF8CC07F
	v_max3_f32 v62, |v80|, |v81|, v62                          // 00000000F618: D1D3033E 04FAA350
	v_max3_f32 v62, |v82|, |v83|, v62                          // 00000000F620: D1D3033E 04FAA752
	v_max3_f32 v62, |v84|, |v85|, v62                          // 00000000F628: D1D3033E 04FAAB54
	v_max3_f32 v62, |v86|, |v87|, v62                          // 00000000F630: D1D3033E 04FAAF56
	v_max3_f32 v62, |v88|, |v89|, v62                          // 00000000F638: D1D3033E 04FAB358
	v_max3_f32 v62, |v90|, |v91|, v62                          // 00000000F640: D1D3033E 04FAB75A
	v_max3_f32 v62, |v92|, |v93|, v62                          // 00000000F648: D1D3033E 04FABB5C
	v_max3_f32 v62, |v94|, |v95|, v62                          // 00000000F650: D1D3033E 04FABF5E
	s_nop 2                                                    // 00000000F658: BF800002
	v_rcp_f32_e32 v62, v62                                     // 00000000F65C: 7E7C453E
	s_nop 1                                                    // 00000000F660: BF800001
	v_mul_f32_e32 v62, 0x42fe0000, v62                         // 00000000F664: 0A7C7CFF 42FE0000
	v_mul_f32_e32 v144, v62, v240                              // 00000000F66C: 0B21E13E
	v_mul_f32_e32 v145, v62, v241                              // 00000000F670: 0B23E33E
	v_mul_f32_e32 v146, v62, v242                              // 00000000F674: 0B25E53E
	v_mul_f32_e32 v147, v62, v243                              // 00000000F678: 0B27E73E
	v_mul_f32_e32 v148, v62, v244                              // 00000000F67C: 0B29E93E
	v_mul_f32_e32 v149, v62, v245                              // 00000000F680: 0B2BEB3E
	v_mul_f32_e32 v150, v62, v246                              // 00000000F684: 0B2DED3E
	v_mul_f32_e32 v151, v62, v247                              // 00000000F688: 0B2FEF3E
	v_mul_f32_e32 v152, v62, v248                              // 00000000F68C: 0B31F13E
	v_mul_f32_e32 v153, v62, v249                              // 00000000F690: 0B33F33E
	v_mul_f32_e32 v154, v62, v250                              // 00000000F694: 0B35F53E
	v_mul_f32_e32 v155, v62, v251                              // 00000000F698: 0B37F73E
	v_mul_f32_e32 v156, v62, v252                              // 00000000F69C: 0B39F93E
	v_mul_f32_e32 v157, v62, v253                              // 00000000F6A0: 0B3BFB3E
	v_mul_f32_e32 v158, v62, v254                              // 00000000F6A4: 0B3DFD3E
	v_mul_f32_e32 v159, v62, v255                              // 00000000F6A8: 0B3FFF3E
	v_cvt_i32_f32_e32 v144, v144                               // 00000000F6AC: 7F201190
	v_cvt_i32_f32_e32 v145, v145                               // 00000000F6B0: 7F221191
	v_cvt_i32_f32_e32 v146, v146                               // 00000000F6B4: 7F241192
	v_cvt_i32_f32_e32 v147, v147                               // 00000000F6B8: 7F261193
	v_cvt_i32_f32_e32 v148, v148                               // 00000000F6BC: 7F281194
	v_cvt_i32_f32_e32 v149, v149                               // 00000000F6C0: 7F2A1195
	v_cvt_i32_f32_e32 v150, v150                               // 00000000F6C4: 7F2C1196
	v_cvt_i32_f32_e32 v151, v151                               // 00000000F6C8: 7F2E1197
	v_cvt_i32_f32_e32 v152, v152                               // 00000000F6CC: 7F301198
	v_cvt_i32_f32_e32 v153, v153                               // 00000000F6D0: 7F321199
	v_cvt_i32_f32_e32 v154, v154                               // 00000000F6D4: 7F34119A
	v_cvt_i32_f32_e32 v155, v155                               // 00000000F6D8: 7F36119B
	v_cvt_i32_f32_e32 v156, v156                               // 00000000F6DC: 7F38119C
	v_cvt_i32_f32_e32 v157, v157                               // 00000000F6E0: 7F3A119D
	v_cvt_i32_f32_e32 v158, v158                               // 00000000F6E4: 7F3C119E
	v_cvt_i32_f32_e32 v159, v159                               // 00000000F6E8: 7F3E119F
	v_perm_b32 v144, v145, v144, s53                           // 00000000F6EC: D1ED0090 00D72191
	v_perm_b32 v144, v146, v144, s54                           // 00000000F6F4: D1ED0090 00DB2192
	v_perm_b32 v144, v147, v144, s55                           // 00000000F6FC: D1ED0090 00DF2193
	v_perm_b32 v145, v149, v148, s53                           // 00000000F704: D1ED0091 00D72995
	v_perm_b32 v145, v150, v145, s54                           // 00000000F70C: D1ED0091 00DB2396
	v_perm_b32 v145, v151, v145, s55                           // 00000000F714: D1ED0091 00DF2397
	v_perm_b32 v146, v153, v152, s53                           // 00000000F71C: D1ED0092 00D73199
	v_perm_b32 v146, v154, v146, s54                           // 00000000F724: D1ED0092 00DB259A
	v_perm_b32 v146, v155, v146, s55                           // 00000000F72C: D1ED0092 00DF259B
	v_perm_b32 v147, v157, v156, s53                           // 00000000F734: D1ED0093 00D7399D
	v_perm_b32 v147, v158, v147, s54                           // 00000000F73C: D1ED0093 00DB279E
	v_perm_b32 v147, v159, v147, s55                           // 00000000F744: D1ED0093 00DF279F
	ds_write_b32 v13, v144 offset:29184                        // 00000000F74C: D81A7200 0000900D
	ds_write_b32 v13, v145 offset:30208                        // 00000000F754: D81A7600 0000910D
	ds_write_b32 v13, v146 offset:31232                        // 00000000F75C: D81A7A00 0000920D
	ds_write_b32 v13, v147 offset:32256                        // 00000000F764: D81A7E00 0000930D
	v_add_f32_e32 v232, v232, v200                             // 00000000F76C: 03D191E8
	v_add_f32_e32 v233, v233, v201                             // 00000000F770: 03D393E9
	v_add_f32_e32 v234, v234, v202                             // 00000000F774: 03D595EA
	v_add_f32_e32 v235, v235, v203                             // 00000000F778: 03D797EB
	v_add_f32_e32 v236, v236, v204                             // 00000000F77C: 03D999EC
	v_add_f32_e32 v237, v237, v205                             // 00000000F780: 03DB9BED
	v_add_f32_e32 v238, v238, v206                             // 00000000F784: 03DD9DEE
	v_add_f32_e32 v239, v239, v207                             // 00000000F788: 03DF9FEF
	v_rcp_f32_e32 v59, v62                                     // 00000000F78C: 7E76453E
	s_waitcnt lgkmcnt(0)                                       // 00000000F790: BF8CC07F
	s_barrier                                                  // 00000000F794: BF8A0000
	ds_read_b64 v[144:145], v12 offset:29184                   // 00000000F798: D8EC7200 9000000C
	ds_read_b64 v[146:147], v12 offset:29312                   // 00000000F7A0: D8EC7280 9200000C
	ds_read_b64 v[148:149], v12 offset:30208                   // 00000000F7A8: D8EC7600 9400000C
	ds_read_b64 v[150:151], v12 offset:30336                   // 00000000F7B0: D8EC7680 9600000C
	ds_read_b64 v[152:153], v12 offset:31232                   // 00000000F7B8: D8EC7A00 9800000C
	ds_read_b64 v[154:155], v12 offset:31360                   // 00000000F7C0: D8EC7A80 9A00000C
	ds_read_b64 v[156:157], v12 offset:32256                   // 00000000F7C8: D8EC7E00 9C00000C
	ds_read_b64 v[158:159], v12 offset:32384                   // 00000000F7D0: D8EC7E80 9E00000C
	s_waitcnt vmcnt(15)                                        // 00000000F7D8: BF8C0F7F
	v_mfma_i32_16x16x32_i8 v[192:195], a[64:65], v[128:129], 0 // 00000000F7DC: D3D700C0 0A030140
	buffer_load_dwordx4 a[112:115], v37, s[20:23], 0 offen offset:1024// 00000000F7E4: E05C1400 80857025
	v_mfma_i32_16x16x32_i8 v[192:195], a[66:67], v[130:131], v[192:195]// 00000000F7EC: D3D700C0 0F030542
	v_mfma_i32_16x16x32_i8 v[192:195], a[68:69], v[132:133], v[192:195]// 00000000F7F4: D3D700C0 0F030944
	v_mfma_i32_16x16x32_i8 v[192:195], a[70:71], v[134:135], v[192:195]// 00000000F7FC: D3D700C0 0F030D46
	v_mfma_i32_16x16x32_i8 v[192:195], a[72:73], v[136:137], v[192:195]// 00000000F804: D3D700C0 0F031148
	buffer_load_dwordx4 a[116:119], v38, s[20:23], 0 offen offset:1024// 00000000F80C: E05C1400 80857426
	v_mfma_i32_16x16x32_i8 v[192:195], a[74:75], v[138:139], v[192:195]// 00000000F814: D3D700C0 0F03154A
	v_mfma_i32_16x16x32_i8 v[192:195], a[76:77], v[140:141], v[192:195]// 00000000F81C: D3D700C0 0F03194C
	v_mfma_i32_16x16x32_i8 v[192:195], a[78:79], v[142:143], v[192:195]// 00000000F824: D3D700C0 0F031D4E
	v_mfma_i32_16x16x32_i8 v[196:199], a[80:81], v[128:129], 0 // 00000000F82C: D3D700C4 0A030150
	buffer_load_dwordx4 a[120:123], v39, s[20:23], 0 offen offset:1024// 00000000F834: E05C1400 80857827
	v_mfma_i32_16x16x32_i8 v[196:199], a[82:83], v[130:131], v[196:199]// 00000000F83C: D3D700C4 0F130552
	v_mfma_i32_16x16x32_i8 v[196:199], a[84:85], v[132:133], v[196:199]// 00000000F844: D3D700C4 0F130954
	v_mfma_i32_16x16x32_i8 v[196:199], a[86:87], v[134:135], v[196:199]// 00000000F84C: D3D700C4 0F130D56
	v_mfma_i32_16x16x32_i8 v[196:199], a[88:89], v[136:137], v[196:199]// 00000000F854: D3D700C4 0F131158
	buffer_load_dwordx4 a[124:127], v40, s[20:23], 0 offen offset:1024// 00000000F85C: E05C1400 80857C28
	v_mfma_i32_16x16x32_i8 v[196:199], a[90:91], v[138:139], v[196:199]// 00000000F864: D3D700C4 0F13155A
	v_mfma_i32_16x16x32_i8 v[196:199], a[92:93], v[140:141], v[196:199]// 00000000F86C: D3D700C4 0F13195C
	s_lshr_b32 s57, s70, 4                                     // 00000000F874: 8F398446
	s_add_u32 s57, 48, s57                                     // 00000000F878: 803939B0
	v_mfma_i32_16x16x32_i8 v[196:199], a[94:95], v[142:143], v[196:199]// 00000000F87C: D3D700C4 0F131D5E
	s_cmp_ge_u32 s57, s73                                      // 00000000F884: BF094939
	s_cselect_b32 s56, 0, s56                                  // 00000000F888: 85383880
	v_mfma_i32_16x16x32_i8 v[200:203], a[64:65], v[144:145], 0 // 00000000F88C: D3D700C8 0A032140
	v_mfma_i32_16x16x32_i8 v[200:203], a[66:67], v[146:147], v[200:203]// 00000000F894: D3D700C8 0F232542
	v_mfma_i32_16x16x32_i8 v[200:203], a[68:69], v[148:149], v[200:203]// 00000000F89C: D3D700C8 0F232944
	v_mfma_i32_16x16x32_i8 v[200:203], a[70:71], v[150:151], v[200:203]// 00000000F8A4: D3D700C8 0F232D46
	v_mfma_i32_16x16x32_i8 v[200:203], a[72:73], v[152:153], v[200:203]// 00000000F8AC: D3D700C8 0F233148
	v_mfma_i32_16x16x32_i8 v[200:203], a[74:75], v[154:155], v[200:203]// 00000000F8B4: D3D700C8 0F23354A
	v_mfma_i32_16x16x32_i8 v[200:203], a[76:77], v[156:157], v[200:203]// 00000000F8BC: D3D700C8 0F23394C
	v_mfma_i32_16x16x32_i8 v[200:203], a[78:79], v[158:159], v[200:203]// 00000000F8C4: D3D700C8 0F233D4E
	v_mfma_i32_16x16x32_i8 v[204:207], a[80:81], v[144:145], 0 // 00000000F8CC: D3D700CC 0A032150
	v_mfma_i32_16x16x32_i8 v[204:207], a[82:83], v[146:147], v[204:207]// 00000000F8D4: D3D700CC 0F332552
	v_mfma_i32_16x16x32_i8 v[204:207], a[84:85], v[148:149], v[204:207]// 00000000F8DC: D3D700CC 0F332954
	v_mfma_i32_16x16x32_i8 v[204:207], a[86:87], v[150:151], v[204:207]// 00000000F8E4: D3D700CC 0F332D56
	v_mfma_i32_16x16x32_i8 v[204:207], a[88:89], v[152:153], v[204:207]// 00000000F8EC: D3D700CC 0F333158
	v_mfma_i32_16x16x32_i8 v[204:207], a[90:91], v[154:155], v[204:207]// 00000000F8F4: D3D700CC 0F33355A
	v_mfma_i32_16x16x32_i8 v[204:207], a[92:93], v[156:157], v[204:207]// 00000000F8FC: D3D700CC 0F33395C
	v_mfma_i32_16x16x32_i8 v[204:207], a[94:95], v[158:159], v[204:207]// 00000000F904: D3D700CC 0F333D5E
	v_add_u32_e32 v1, s56, v1                                  // 00000000F90C: 68020238
	s_addk_i32 s70, 0x100                                      // 00000000F910: B7460100
	s_cmp_lt_i32 s70, s71                                      // 00000000F914: BF044746
	s_cbranch_scc0 label_303B                                  // 00000000F918: BF84FA74
	s_waitcnt vmcnt(8) lgkmcnt(0)                              // 00000000F91C: BF8C0078
	v_mul_u32_u24_dpp v41, v19, v68 row_newbcast:0 row_mask:0xf bank_mask:0xf// 00000000F920: 105288FA FF015013
	v_mul_u32_u24_dpp v42, v19, v68 row_newbcast:4 row_mask:0xf bank_mask:0xf// 00000000F928: 105488FA FF015413
	v_mul_u32_u24_dpp v43, v19, v68 row_newbcast:8 row_mask:0xf bank_mask:0xf// 00000000F930: 105688FA FF015813
	v_mul_u32_u24_dpp v44, v19, v68 row_newbcast:12 row_mask:0xf bank_mask:0xf// 00000000F938: 105888FA FF015C13
	v_add_u32_e32 v25, v41, v6                                 // 00000000F940: 68320D29
	v_add_u32_e32 v26, v42, v6                                 // 00000000F944: 68340D2A
	v_add_u32_e32 v27, v43, v6                                 // 00000000F948: 68360D2B
	v_add_u32_e32 v28, v44, v6                                 // 00000000F94C: 68380D2C
	v_mul_u32_u24_dpp v41, v19, v78 quad_perm:[0,0,0,0] row_mask:0xf bank_mask:0xf// 00000000F950: 10529CFA FF000013
	v_add_u32_e32 v2, v41, v74                                 // 00000000F958: 68049529
	v_mul_u32_u24_dpp v41, v19, v78 quad_perm:[0,0,0,0] row_mask:0xf bank_mask:0xf// 00000000F95C: 10529CFA FF000013
	v_add_u32_e32 v70, v41, v75                                // 00000000F964: 688C9729
	v_mfma_i32_16x16x32_i8 v[128:131], a[32:33], v[96:97], 0   // 00000000F968: D3D70080 0A02C120
	buffer_load_dwordx4 a[0:3], v25, s[16:19], 0 offen         // 00000000F970: E05C1000 80840019
	v_mfma_i32_16x16x32_i8 v[128:131], a[34:35], v[98:99], v[128:131]// 00000000F978: D3D70080 0E02C522
	v_mfma_i32_16x16x32_i8 v[128:131], a[36:37], v[100:101], v[128:131]// 00000000F980: D3D70080 0E02C924
	buffer_load_dword v20, v1, s[24:27], 0 offen               // 00000000F988: E0501000 80061401
	v_mfma_i32_16x16x32_i8 v[128:131], a[38:39], v[102:103], v[128:131]// 00000000F990: D3D70080 0E02CD26
	v_mfma_i32_16x16x32_i8 v[132:135], a[40:41], v[96:97], 0   // 00000000F998: D3D70084 0A02C128
	buffer_load_dwordx4 a[4:7], v25, s[16:19], 0 offen offset:1024// 00000000F9A0: E05C1400 80840419
	v_mfma_i32_16x16x32_i8 v[132:135], a[42:43], v[98:99], v[132:135]// 00000000F9A8: D3D70084 0E12C52A
	v_mfma_i32_16x16x32_i8 v[132:135], a[44:45], v[100:101], v[132:135]// 00000000F9B0: D3D70084 0E12C92C
	v_mfma_i32_16x16x32_i8 v[132:135], a[46:47], v[102:103], v[132:135]// 00000000F9B8: D3D70084 0E12CD2E
	v_mfma_i32_16x16x32_i8 v[136:139], a[48:49], v[96:97], 0   // 00000000F9C0: D3D70088 0A02C130
	buffer_load_dwordx4 a[8:11], v26, s[16:19], 0 offen        // 00000000F9C8: E05C1000 8084081A
	v_mfma_i32_16x16x32_i8 v[136:139], a[50:51], v[98:99], v[136:139]// 00000000F9D0: D3D70088 0E22C532
	v_mfma_i32_16x16x32_i8 v[136:139], a[52:53], v[100:101], v[136:139]// 00000000F9D8: D3D70088 0E22C934
	v_mfma_i32_16x16x32_i8 v[136:139], a[54:55], v[102:103], v[136:139]// 00000000F9E0: D3D70088 0E22CD36
	v_mfma_i32_16x16x32_i8 v[140:143], a[56:57], v[96:97], 0   // 00000000F9E8: D3D7008C 0A02C138
	buffer_load_dwordx4 a[12:15], v26, s[16:19], 0 offen offset:1024// 00000000F9F0: E05C1400 80840C1A
	v_mfma_i32_16x16x32_i8 v[140:143], a[58:59], v[98:99], v[140:143]// 00000000F9F8: D3D7008C 0E32C53A
	v_mfma_i32_16x16x32_i8 v[140:143], a[60:61], v[100:101], v[140:143]// 00000000FA00: D3D7008C 0E32C93C
	v_mfma_i32_16x16x32_i8 v[140:143], a[62:63], v[102:103], v[140:143]// 00000000FA08: D3D7008C 0E32CD3E
	v_mfma_i32_16x16x32_i8 v[144:147], a[32:33], v[104:105], 0 // 00000000FA10: D3D70090 0A02D120
	v_mfma_i32_16x16x32_i8 v[144:147], a[34:35], v[106:107], v[144:147]// 00000000FA18: D3D70090 0E42D522
	v_mfma_i32_16x16x32_i8 v[144:147], a[36:37], v[108:109], v[144:147]// 00000000FA20: D3D70090 0E42D924
	v_mfma_i32_16x16x32_i8 v[144:147], a[38:39], v[110:111], v[144:147]// 00000000FA28: D3D70090 0E42DD26
	v_mfma_i32_16x16x32_i8 v[148:151], a[40:41], v[104:105], 0 // 00000000FA30: D3D70094 0A02D128
	v_mfma_i32_16x16x32_i8 v[148:151], a[42:43], v[106:107], v[148:151]// 00000000FA38: D3D70094 0E52D52A
	v_mfma_i32_16x16x32_i8 v[148:151], a[44:45], v[108:109], v[148:151]// 00000000FA40: D3D70094 0E52D92C
	v_mfma_i32_16x16x32_i8 v[148:151], a[46:47], v[110:111], v[148:151]// 00000000FA48: D3D70094 0E52DD2E
	v_mfma_i32_16x16x32_i8 v[152:155], a[48:49], v[104:105], 0 // 00000000FA50: D3D70098 0A02D130
	v_mfma_i32_16x16x32_i8 v[152:155], a[50:51], v[106:107], v[152:155]// 00000000FA58: D3D70098 0E62D532
	v_mfma_i32_16x16x32_i8 v[152:155], a[52:53], v[108:109], v[152:155]// 00000000FA60: D3D70098 0E62D934
	v_mfma_i32_16x16x32_i8 v[152:155], a[54:55], v[110:111], v[152:155]// 00000000FA68: D3D70098 0E62DD36
	v_mfma_i32_16x16x32_i8 v[156:159], a[56:57], v[104:105], 0 // 00000000FA70: D3D7009C 0A02D138
	v_mfma_i32_16x16x32_i8 v[156:159], a[58:59], v[106:107], v[156:159]// 00000000FA78: D3D7009C 0E72D53A
	v_mfma_i32_16x16x32_i8 v[156:159], a[60:61], v[108:109], v[156:159]// 00000000FA80: D3D7009C 0E72D93C
	v_mfma_i32_16x16x32_i8 v[156:159], a[62:63], v[110:111], v[156:159]// 00000000FA88: D3D7009C 0E72DD3E
	buffer_load_dword v52, v2, s[32:35], 0 offen               // 00000000FA90: E0501000 80083402
	v_mov_b32_dpp v41, v53 row_shr:4 row_mask:0xf bank_mask:0xf// 00000000FA98: 7E5202FA FF011435
	v_mov_b32_dpp v42, v53 row_shl:4 row_mask:0xf bank_mask:0xf// 00000000FAA0: 7E5402FA FF010435
	v_cndmask_b32_e64 v248, v53, v41, s[44:45]                 // 00000000FAA8: D10000F8 00B25335
	v_cndmask_b32_e64 v249, v42, v53, s[44:45]                 // 00000000FAB0: D10000F9 00B26B2A
	v_mov_b32_dpp v41, v248 row_shr:8 row_mask:0xf bank_mask:0xf// 00000000FAB8: 7E5202FA FF0118F8
	v_mov_b32_dpp v42, v248 row_shl:8 row_mask:0xf bank_mask:0xf// 00000000FAC0: 7E5402FA FF0108F8
	v_mov_b32_dpp v43, v249 row_shr:8 row_mask:0xf bank_mask:0xf// 00000000FAC8: 7E5602FA FF0118F9
	v_mov_b32_dpp v44, v249 row_shl:8 row_mask:0xf bank_mask:0xf// 00000000FAD0: 7E5802FA FF0108F9
	v_mov_b32_e32 v45, v248                                    // 00000000FAD8: 7E5A03F8
	v_mov_b32_e32 v46, v249                                    // 00000000FADC: 7E5C03F9
	v_cndmask_b32_e64 v248, v45, v41, s[42:43]                 // 00000000FAE0: D10000F8 00AA532D
	v_cndmask_b32_e64 v250, v45, v42, s[78:79]                 // 00000000FAE8: D10000FA 013A552D
	v_cndmask_b32_e64 v249, v46, v43, s[42:43]                 // 00000000FAF0: D10000F9 00AA572E
	v_cndmask_b32_e64 v251, v46, v44, s[78:79]                 // 00000000FAF8: D10000FB 013A592E
	v_mov_b32_dpp v41, v73 row_shr:4 row_mask:0xf bank_mask:0xf// 00000000FB00: 7E5202FA FF011449
	v_mov_b32_dpp v42, v73 row_shl:4 row_mask:0xf bank_mask:0xf// 00000000FB08: 7E5402FA FF010449
	v_cndmask_b32_e64 v252, v73, v41, s[44:45]                 // 00000000FB10: D10000FC 00B25349
	v_cndmask_b32_e64 v253, v42, v73, s[44:45]                 // 00000000FB18: D10000FD 00B2932A
	v_mov_b32_dpp v41, v252 row_shr:8 row_mask:0xf bank_mask:0xf// 00000000FB20: 7E5202FA FF0118FC
	v_mov_b32_dpp v42, v252 row_shl:8 row_mask:0xf bank_mask:0xf// 00000000FB28: 7E5402FA FF0108FC
	v_mov_b32_dpp v43, v253 row_shr:8 row_mask:0xf bank_mask:0xf// 00000000FB30: 7E5602FA FF0118FD
	v_mov_b32_dpp v44, v253 row_shl:8 row_mask:0xf bank_mask:0xf// 00000000FB38: 7E5802FA FF0108FD
	v_mov_b32_e32 v45, v252                                    // 00000000FB40: 7E5A03FC
	v_mov_b32_e32 v46, v253                                    // 00000000FB44: 7E5C03FD
	v_cndmask_b32_e64 v252, v45, v41, s[42:43]                 // 00000000FB48: D10000FC 00AA532D
	v_cndmask_b32_e64 v254, v45, v42, s[78:79]                 // 00000000FB50: D10000FE 013A552D
	v_cndmask_b32_e64 v253, v46, v43, s[42:43]                 // 00000000FB58: D10000FD 00AA572E
	v_cndmask_b32_e64 v255, v46, v44, s[78:79]                 // 00000000FB60: D10000FF 013A592E
	buffer_load_dword v72, v70, s[36:39], 0 offen              // 00000000FB68: E0501000 80094846
	v_cvt_f32_i32_e32 v128, v128                               // 00000000FB70: 7F000B80
	v_cvt_f32_i32_e32 v129, v129                               // 00000000FB74: 7F020B81
	v_cvt_f32_i32_e32 v130, v130                               // 00000000FB78: 7F040B82
	v_cvt_f32_i32_e32 v131, v131                               // 00000000FB7C: 7F060B83
	v_cvt_f32_i32_e32 v132, v132                               // 00000000FB80: 7F080B84
	v_cvt_f32_i32_e32 v133, v133                               // 00000000FB84: 7F0A0B85
	v_cvt_f32_i32_e32 v134, v134                               // 00000000FB88: 7F0C0B86
	v_cvt_f32_i32_e32 v135, v135                               // 00000000FB8C: 7F0E0B87
	v_cvt_f32_i32_e32 v136, v136                               // 00000000FB90: 7F100B88
	v_cvt_f32_i32_e32 v137, v137                               // 00000000FB94: 7F120B89
	v_cvt_f32_i32_e32 v138, v138                               // 00000000FB98: 7F140B8A
	v_cvt_f32_i32_e32 v139, v139                               // 00000000FB9C: 7F160B8B
	v_cvt_f32_i32_e32 v140, v140                               // 00000000FBA0: 7F180B8C
	v_cvt_f32_i32_e32 v141, v141                               // 00000000FBA4: 7F1A0B8D
	v_cvt_f32_i32_e32 v142, v142                               // 00000000FBA8: 7F1C0B8E
	v_cvt_f32_i32_e32 v143, v143                               // 00000000FBAC: 7F1E0B8F
	v_mul_f32_e32 v128, v54, v128                              // 00000000FBB0: 0B010136
	v_mul_f32_e32 v129, v54, v129                              // 00000000FBB4: 0B030336
	v_mul_f32_e32 v130, v54, v130                              // 00000000FBB8: 0B050536
	v_mul_f32_e32 v131, v54, v131                              // 00000000FBBC: 0B070736
	v_mul_f32_e32 v132, v54, v132                              // 00000000FBC0: 0B090936
	v_mul_f32_e32 v133, v54, v133                              // 00000000FBC4: 0B0B0B36
	v_mul_f32_e32 v134, v54, v134                              // 00000000FBC8: 0B0D0D36
	v_mul_f32_e32 v135, v54, v135                              // 00000000FBCC: 0B0F0F36
	v_mul_f32_e32 v136, v54, v136                              // 00000000FBD0: 0B111136
	v_mul_f32_e32 v137, v54, v137                              // 00000000FBD4: 0B131336
	v_mul_f32_e32 v138, v54, v138                              // 00000000FBD8: 0B151536
	v_mul_f32_e32 v139, v54, v139                              // 00000000FBDC: 0B171736
	v_mul_f32_e32 v140, v54, v140                              // 00000000FBE0: 0B191936
	v_mul_f32_e32 v141, v54, v141                              // 00000000FBE4: 0B1B1B36
	v_mul_f32_e32 v142, v54, v142                              // 00000000FBE8: 0B1D1D36
	v_mul_f32_e32 v143, v54, v143                              // 00000000FBEC: 0B1F1F36
	buffer_load_dwordx4 a[16:19], v27, s[16:19], 0 offen       // 00000000FBF0: E05C1000 8084101B
	v_mul_f32_dpp v128, v248, v128 quad_perm:[0,0,0,0] row_mask:0xf bank_mask:0xf// 00000000FBF8: 0B0100FA FF0000F8
	v_mul_f32_dpp v129, v248, v129 quad_perm:[1,1,1,1] row_mask:0xf bank_mask:0xf// 00000000FC00: 0B0302FA FF0055F8
	v_mul_f32_dpp v130, v248, v130 quad_perm:[2,2,2,2] row_mask:0xf bank_mask:0xf// 00000000FC08: 0B0504FA FF00AAF8
	v_mul_f32_dpp v131, v248, v131 quad_perm:[3,3,3,3] row_mask:0xf bank_mask:0xf// 00000000FC10: 0B0706FA FF00FFF8
	v_mul_f32_dpp v132, v249, v132 quad_perm:[0,0,0,0] row_mask:0xf bank_mask:0xf// 00000000FC18: 0B0908FA FF0000F9
	v_mul_f32_dpp v133, v249, v133 quad_perm:[1,1,1,1] row_mask:0xf bank_mask:0xf// 00000000FC20: 0B0B0AFA FF0055F9
	v_mul_f32_dpp v134, v249, v134 quad_perm:[2,2,2,2] row_mask:0xf bank_mask:0xf// 00000000FC28: 0B0D0CFA FF00AAF9
	v_mul_f32_dpp v135, v249, v135 quad_perm:[3,3,3,3] row_mask:0xf bank_mask:0xf// 00000000FC30: 0B0F0EFA FF00FFF9
	v_mul_f32_dpp v136, v250, v136 quad_perm:[0,0,0,0] row_mask:0xf bank_mask:0xf// 00000000FC38: 0B1110FA FF0000FA
	v_mul_f32_dpp v137, v250, v137 quad_perm:[1,1,1,1] row_mask:0xf bank_mask:0xf// 00000000FC40: 0B1312FA FF0055FA
	v_mul_f32_dpp v138, v250, v138 quad_perm:[2,2,2,2] row_mask:0xf bank_mask:0xf// 00000000FC48: 0B1514FA FF00AAFA
	v_mul_f32_dpp v139, v250, v139 quad_perm:[3,3,3,3] row_mask:0xf bank_mask:0xf// 00000000FC50: 0B1716FA FF00FFFA
	v_mul_f32_dpp v140, v251, v140 quad_perm:[0,0,0,0] row_mask:0xf bank_mask:0xf// 00000000FC58: 0B1918FA FF0000FB
	v_mul_f32_dpp v141, v251, v141 quad_perm:[1,1,1,1] row_mask:0xf bank_mask:0xf// 00000000FC60: 0B1B1AFA FF0055FB
	v_mul_f32_dpp v142, v251, v142 quad_perm:[2,2,2,2] row_mask:0xf bank_mask:0xf// 00000000FC68: 0B1D1CFA FF00AAFB
	v_mul_f32_dpp v143, v251, v143 quad_perm:[3,3,3,3] row_mask:0xf bank_mask:0xf// 00000000FC70: 0B1F1EFA FF00FFFB
	buffer_load_dwordx4 a[20:23], v27, s[16:19], 0 offen offset:1024// 00000000FC78: E05C1400 8084141B
	s_cmp_le_i32 s90, s89                                      // 00000000FC80: BF05595A
	s_cbranch_scc1 label_3715                                  // 00000000FC84: BF850073
	v_mov_b32_e32 v69, 0xff800000                              // 00000000FC88: 7E8A02FF FF800000
	s_mov_b32 s60, s90                                         // 00000000FC90: BEBC005A
	s_add_u32 s61, s89, 0xff                                   // 00000000FC94: 803DFF59 000000FF
	v_mov_b32_e32 v41, s61                                     // 00000000FC9C: 7E52023D
	v_lshrrev_b32_e32 v240, 4, v0                              // 00000000FCA0: 21E00084
	v_mul_i32_i24_e32 v240, 4, v240                            // 00000000FCA4: 0DE1E084
	v_add_u32_e32 v240, s60, v240                              // 00000000FCA8: 69E1E03C
	v_and_b32_e32 v42, 15, v0                                  // 00000000FCAC: 2654008F
	v_lshrrev_b32_e32 v42, 3, v42                              // 00000000FCB0: 20545483
	s_mov_b32 s61, 0                                           // 00000000FCB4: BEBD0080
	s_mul_i32 s60, 16, s7                                      // 00000000FCB8: 923C0790
	v_add_u32_e32 v42, s61, v42                                // 00000000FCBC: 6854543D
	v_sub_u32_e32 v240, v240, v42                              // 00000000FCC0: 6BE055F0
	v_add_u32_e32 v240, s60, v240                              // 00000000FCC4: 69E1E03C
	v_add_u32_e32 v241, 1, v240                                // 00000000FCC8: 69E3E081
	v_add_u32_e32 v242, 2, v240                                // 00000000FCCC: 69E5E082
	v_add_u32_e32 v243, 3, v240                                // 00000000FCD0: 69E7E083
	v_cmp_le_u32_e64 s[40:41], v240, v41                       // 00000000FCD4: D0CB0028 000253F0
	v_add_u32_e32 v240, 64, v240                               // 00000000FCDC: 69E1E0C0
	s_nop 0                                                    // 00000000FCE0: BF800000
	v_cndmask_b32_e64 v128, v69, v128, s[40:41]                // 00000000FCE4: D1000080 00A30145
	v_cmp_le_u32_e64 s[40:41], v241, v41                       // 00000000FCEC: D0CB0028 000253F1
	v_add_u32_e32 v241, 64, v241                               // 00000000FCF4: 69E3E2C0
	s_nop 0                                                    // 00000000FCF8: BF800000
	v_cndmask_b32_e64 v129, v69, v129, s[40:41]                // 00000000FCFC: D1000081 00A30345
	v_cmp_le_u32_e64 s[40:41], v242, v41                       // 00000000FD04: D0CB0028 000253F2
	v_add_u32_e32 v242, 64, v242                               // 00000000FD0C: 69E5E4C0
	s_nop 0                                                    // 00000000FD10: BF800000
	v_cndmask_b32_e64 v130, v69, v130, s[40:41]                // 00000000FD14: D1000082 00A30545
	v_cmp_le_u32_e64 s[40:41], v243, v41                       // 00000000FD1C: D0CB0028 000253F3
	v_add_u32_e32 v243, 64, v243                               // 00000000FD24: 69E7E6C0
	s_nop 0                                                    // 00000000FD28: BF800000
	v_cndmask_b32_e64 v131, v69, v131, s[40:41]                // 00000000FD2C: D1000083 00A30745
	v_cmp_le_u32_e64 s[40:41], v240, v41                       // 00000000FD34: D0CB0028 000253F0
	v_add_u32_e32 v240, 64, v240                               // 00000000FD3C: 69E1E0C0
	s_nop 0                                                    // 00000000FD40: BF800000
	v_cndmask_b32_e64 v132, v69, v132, s[40:41]                // 00000000FD44: D1000084 00A30945
	v_cmp_le_u32_e64 s[40:41], v241, v41                       // 00000000FD4C: D0CB0028 000253F1
	v_add_u32_e32 v241, 64, v241                               // 00000000FD54: 69E3E2C0
	s_nop 0                                                    // 00000000FD58: BF800000
	v_cndmask_b32_e64 v133, v69, v133, s[40:41]                // 00000000FD5C: D1000085 00A30B45
	v_cmp_le_u32_e64 s[40:41], v242, v41                       // 00000000FD64: D0CB0028 000253F2
	v_add_u32_e32 v242, 64, v242                               // 00000000FD6C: 69E5E4C0
	s_nop 0                                                    // 00000000FD70: BF800000
	v_cndmask_b32_e64 v134, v69, v134, s[40:41]                // 00000000FD74: D1000086 00A30D45
	v_cmp_le_u32_e64 s[40:41], v243, v41                       // 00000000FD7C: D0CB0028 000253F3
	v_add_u32_e32 v243, 64, v243                               // 00000000FD84: 69E7E6C0
	s_nop 0                                                    // 00000000FD88: BF800000
	v_cndmask_b32_e64 v135, v69, v135, s[40:41]                // 00000000FD8C: D1000087 00A30F45
	v_cmp_le_u32_e64 s[40:41], v240, v41                       // 00000000FD94: D0CB0028 000253F0
	v_add_u32_e32 v240, 64, v240                               // 00000000FD9C: 69E1E0C0
	s_nop 0                                                    // 00000000FDA0: BF800000
	v_cndmask_b32_e64 v136, v69, v136, s[40:41]                // 00000000FDA4: D1000088 00A31145
	v_cmp_le_u32_e64 s[40:41], v241, v41                       // 00000000FDAC: D0CB0028 000253F1
	v_add_u32_e32 v241, 64, v241                               // 00000000FDB4: 69E3E2C0
	s_nop 0                                                    // 00000000FDB8: BF800000
	v_cndmask_b32_e64 v137, v69, v137, s[40:41]                // 00000000FDBC: D1000089 00A31345
	v_cmp_le_u32_e64 s[40:41], v242, v41                       // 00000000FDC4: D0CB0028 000253F2
	v_add_u32_e32 v242, 64, v242                               // 00000000FDCC: 69E5E4C0
	s_nop 0                                                    // 00000000FDD0: BF800000
	v_cndmask_b32_e64 v138, v69, v138, s[40:41]                // 00000000FDD4: D100008A 00A31545
	v_cmp_le_u32_e64 s[40:41], v243, v41                       // 00000000FDDC: D0CB0028 000253F3
	v_add_u32_e32 v243, 64, v243                               // 00000000FDE4: 69E7E6C0
	s_nop 0                                                    // 00000000FDE8: BF800000
	v_cndmask_b32_e64 v139, v69, v139, s[40:41]                // 00000000FDEC: D100008B 00A31745
	v_cmp_le_u32_e64 s[40:41], v240, v41                       // 00000000FDF4: D0CB0028 000253F0
	v_add_u32_e32 v240, 64, v240                               // 00000000FDFC: 69E1E0C0
	s_nop 0                                                    // 00000000FE00: BF800000
	v_cndmask_b32_e64 v140, v69, v140, s[40:41]                // 00000000FE04: D100008C 00A31945
	v_cmp_le_u32_e64 s[40:41], v241, v41                       // 00000000FE0C: D0CB0028 000253F1
	v_add_u32_e32 v241, 64, v241                               // 00000000FE14: 69E3E2C0
	s_nop 0                                                    // 00000000FE18: BF800000
	v_cndmask_b32_e64 v141, v69, v141, s[40:41]                // 00000000FE1C: D100008D 00A31B45
	v_cmp_le_u32_e64 s[40:41], v242, v41                       // 00000000FE24: D0CB0028 000253F2
	v_add_u32_e32 v242, 64, v242                               // 00000000FE2C: 69E5E4C0
	s_nop 0                                                    // 00000000FE30: BF800000
	v_cndmask_b32_e64 v142, v69, v142, s[40:41]                // 00000000FE34: D100008E 00A31D45
	v_cmp_le_u32_e64 s[40:41], v243, v41                       // 00000000FE3C: D0CB0028 000253F3
	v_add_u32_e32 v243, 64, v243                               // 00000000FE44: 69E7E6C0
	s_nop 0                                                    // 00000000FE48: BF800000
	v_cndmask_b32_e64 v143, v69, v143, s[40:41]                // 00000000FE4C: D100008F 00A31F45

000000000000fe54 <label_3715>:
	v_mov_b32_e32 v62, v128                                    // 00000000FE54: 7E7C0380
	v_max3_f32 v62, v128, v129, v62                            // 00000000FE58: D1D3003E 04FB0380
	v_max3_f32 v62, v130, v131, v62                            // 00000000FE60: D1D3003E 04FB0782
	v_max3_f32 v62, v132, v133, v62                            // 00000000FE68: D1D3003E 04FB0B84
	v_max3_f32 v62, v134, v135, v62                            // 00000000FE70: D1D3003E 04FB0F86
	v_max3_f32 v62, v136, v137, v62                            // 00000000FE78: D1D3003E 04FB1388
	v_max3_f32 v62, v138, v139, v62                            // 00000000FE80: D1D3003E 04FB178A
	v_max3_f32 v62, v140, v141, v62                            // 00000000FE88: D1D3003E 04FB1B8C
	v_max3_f32 v62, v142, v143, v62                            // 00000000FE90: D1D3003E 04FB1F8E
	ds_write_b32 v11, v62 offset:16896                         // 00000000FE98: D81A4200 00003E0B
	buffer_load_dwordx4 a[24:27], v28, s[16:19], 0 offen       // 00000000FEA0: E05C1000 8084181C
	v_mul_u32_u24_dpp v41, v19, v68 row_newbcast:1 row_mask:0xf bank_mask:0xf// 00000000FEA8: 105288FA FF015113
	v_mul_u32_u24_dpp v42, v19, v68 row_newbcast:5 row_mask:0xf bank_mask:0xf// 00000000FEB0: 105488FA FF015513
	v_mul_u32_u24_dpp v43, v19, v68 row_newbcast:9 row_mask:0xf bank_mask:0xf// 00000000FEB8: 105688FA FF015913
	v_mul_u32_u24_dpp v44, v19, v68 row_newbcast:13 row_mask:0xf bank_mask:0xf// 00000000FEC0: 105888FA FF015D13
	v_add_u32_e32 v33, v41, v7                                 // 00000000FEC8: 68420F29
	v_add_u32_e32 v34, v42, v7                                 // 00000000FECC: 68440F2A
	v_add_u32_e32 v35, v43, v7                                 // 00000000FED0: 68460F2B
	v_add_u32_e32 v36, v44, v7                                 // 00000000FED4: 68480F2C
	v_mul_f32_e32 v224, v63, v224                              // 00000000FED8: 0BC1C13F
	v_mul_f32_e32 v225, v63, v225                              // 00000000FEDC: 0BC3C33F
	v_mul_f32_e32 v226, v63, v226                              // 00000000FEE0: 0BC5C53F
	v_mul_f32_e32 v227, v63, v227                              // 00000000FEE4: 0BC7C73F
	v_mul_f32_e32 v228, v63, v228                              // 00000000FEE8: 0BC9C93F
	v_mul_f32_e32 v229, v63, v229                              // 00000000FEEC: 0BCBCB3F
	v_mul_f32_e32 v230, v63, v230                              // 00000000FEF0: 0BCDCD3F
	v_mul_f32_e32 v231, v63, v231                              // 00000000FEF4: 0BCFCF3F
	s_waitcnt lgkmcnt(0)                                       // 00000000FEF8: BF8CC07F
	s_barrier                                                  // 00000000FEFC: BF8A0000
	ds_read_b32 v80, v10 offset:16896                          // 00000000FF00: D86C4200 5000000A
	ds_read_b32 v81, v10 offset:16960                          // 00000000FF08: D86C4240 5100000A
	ds_read_b32 v82, v10 offset:17024                          // 00000000FF10: D86C4280 5200000A
	ds_read_b32 v83, v10 offset:17088                          // 00000000FF18: D86C42C0 5300000A
	ds_read_b32 v84, v10 offset:17152                          // 00000000FF20: D86C4300 5400000A
	ds_read_b32 v85, v10 offset:17216                          // 00000000FF28: D86C4340 5500000A
	ds_read_b32 v86, v10 offset:17280                          // 00000000FF30: D86C4380 5600000A
	ds_read_b32 v87, v10 offset:17344                          // 00000000FF38: D86C43C0 5700000A
	ds_read_b32 v88, v10 offset:17408                          // 00000000FF40: D86C4400 5800000A
	ds_read_b32 v89, v10 offset:17472                          // 00000000FF48: D86C4440 5900000A
	ds_read_b32 v90, v10 offset:17536                          // 00000000FF50: D86C4480 5A00000A
	ds_read_b32 v91, v10 offset:17600                          // 00000000FF58: D86C44C0 5B00000A
	ds_read_b32 v92, v10 offset:17664                          // 00000000FF60: D86C4500 5C00000A
	ds_read_b32 v93, v10 offset:17728                          // 00000000FF68: D86C4540 5D00000A
	ds_read_b32 v94, v10 offset:17792                          // 00000000FF70: D86C4580 5E00000A
	ds_read_b32 v95, v10 offset:17856                          // 00000000FF78: D86C45C0 5F00000A
	buffer_load_dwordx4 a[28:31], v28, s[16:19], 0 offen offset:1024// 00000000FF80: E05C1400 80841C1C
	v_cvt_f32_i32_e32 v192, v192                               // 00000000FF88: 7F800BC0
	v_cvt_f32_i32_e32 v193, v193                               // 00000000FF8C: 7F820BC1
	v_cvt_f32_i32_e32 v194, v194                               // 00000000FF90: 7F840BC2
	v_cvt_f32_i32_e32 v195, v195                               // 00000000FF94: 7F860BC3
	v_cvt_f32_i32_e32 v196, v196                               // 00000000FF98: 7F880BC4
	v_cvt_f32_i32_e32 v197, v197                               // 00000000FF9C: 7F8A0BC5
	v_cvt_f32_i32_e32 v198, v198                               // 00000000FFA0: 7F8C0BC6
	v_cvt_f32_i32_e32 v199, v199                               // 00000000FFA4: 7F8E0BC7
	v_mul_f32_e32 v192, v58, v192                              // 00000000FFA8: 0B81813A
	v_mul_f32_e32 v193, v58, v193                              // 00000000FFAC: 0B83833A
	v_mul_f32_e32 v194, v58, v194                              // 00000000FFB0: 0B85853A
	v_mul_f32_e32 v195, v58, v195                              // 00000000FFB4: 0B87873A
	v_mul_f32_e32 v196, v58, v196                              // 00000000FFB8: 0B89893A
	v_mul_f32_e32 v197, v58, v197                              // 00000000FFBC: 0B8B8B3A
	v_mul_f32_e32 v198, v58, v198                              // 00000000FFC0: 0B8D8D3A
	v_mul_f32_e32 v199, v58, v199                              // 00000000FFC4: 0B8F8F3A
	s_waitcnt lgkmcnt(0)                                       // 00000000FFC8: BF8CC07F
	v_max3_f32 v62, v80, v81, v62                              // 00000000FFCC: D1D3003E 04FAA350
	v_max3_f32 v62, v82, v83, v62                              // 00000000FFD4: D1D3003E 04FAA752
	v_max3_f32 v62, v84, v85, v62                              // 00000000FFDC: D1D3003E 04FAAB54
	v_max3_f32 v62, v86, v87, v62                              // 00000000FFE4: D1D3003E 04FAAF56
	v_max3_f32 v62, v88, v89, v62                              // 00000000FFEC: D1D3003E 04FAB358
	v_max3_f32 v62, v90, v91, v62                              // 00000000FFF4: D1D3003E 04FAB75A
	v_max3_f32 v62, v92, v93, v62                              // 00000000FFFC: D1D3003E 04FABB5C
	v_max3_f32 v62, v94, v95, v62                              // 000000010004: D1D3003E 04FABF5E
	buffer_load_dwordx4 a[64:67], v33, s[20:23], 0 offen       // 00000001000C: E05C1000 80854021
	v_mov_b32_e32 v41, 0xff800000                              // 000000010014: 7E5202FF FF800000
	v_cmp_eq_u32_e64 s[40:41], v41, v14                        // 00000001001C: D0CA0028 00021D29
	s_nop 1                                                    // 000000010024: BF800001
	v_max_f32_e32 v18, v62, v14                                // 000000010028: 16241D3E
	v_mul_f32_e32 v67, s64, v18                                // 00000001002C: 0A862440
	v_fma_f32 v128, v128, s64, -v67                            // 000000010030: D1CB0080 850C8180
	v_fma_f32 v129, v129, s64, -v67                            // 000000010038: D1CB0081 850C8181
	v_fma_f32 v130, v130, s64, -v67                            // 000000010040: D1CB0082 850C8182
	v_fma_f32 v131, v131, s64, -v67                            // 000000010048: D1CB0083 850C8183
	v_fma_f32 v132, v132, s64, -v67                            // 000000010050: D1CB0084 850C8184
	v_fma_f32 v133, v133, s64, -v67                            // 000000010058: D1CB0085 850C8185
	v_fma_f32 v134, v134, s64, -v67                            // 000000010060: D1CB0086 850C8186
	v_fma_f32 v135, v135, s64, -v67                            // 000000010068: D1CB0087 850C8187
	v_fma_f32 v136, v136, s64, -v67                            // 000000010070: D1CB0088 850C8188
	v_fma_f32 v137, v137, s64, -v67                            // 000000010078: D1CB0089 850C8189
	v_fma_f32 v138, v138, s64, -v67                            // 000000010080: D1CB008A 850C818A
	v_fma_f32 v139, v139, s64, -v67                            // 000000010088: D1CB008B 850C818B
	v_fma_f32 v140, v140, s64, -v67                            // 000000010090: D1CB008C 850C818C
	v_fma_f32 v141, v141, s64, -v67                            // 000000010098: D1CB008D 850C818D
	v_fma_f32 v142, v142, s64, -v67                            // 0000000100A0: D1CB008E 850C818E
	v_fma_f32 v143, v143, s64, -v67                            // 0000000100A8: D1CB008F 850C818F
	buffer_load_dwordx4 a[68:71], v34, s[20:23], 0 offen       // 0000000100B0: E05C1000 80854422
	v_exp_f32_e32 v128, v128                                   // 0000000100B8: 7F004180
	v_exp_f32_e32 v129, v129                                   // 0000000100BC: 7F024181
	v_exp_f32_e32 v130, v130                                   // 0000000100C0: 7F044182
	v_exp_f32_e32 v131, v131                                   // 0000000100C4: 7F064183
	v_exp_f32_e32 v132, v132                                   // 0000000100C8: 7F084184
	v_exp_f32_e32 v133, v133                                   // 0000000100CC: 7F0A4185
	v_exp_f32_e32 v134, v134                                   // 0000000100D0: 7F0C4186
	v_exp_f32_e32 v135, v135                                   // 0000000100D4: 7F0E4187
	v_exp_f32_e32 v136, v136                                   // 0000000100D8: 7F104188
	v_exp_f32_e32 v137, v137                                   // 0000000100DC: 7F124189
	v_exp_f32_e32 v138, v138                                   // 0000000100E0: 7F14418A
	v_exp_f32_e32 v139, v139                                   // 0000000100E4: 7F16418B
	v_exp_f32_e32 v140, v140                                   // 0000000100E8: 7F18418C
	v_exp_f32_e32 v141, v141                                   // 0000000100EC: 7F1A418D
	v_exp_f32_e32 v142, v142                                   // 0000000100F0: 7F1C418E
	v_exp_f32_e32 v143, v143                                   // 0000000100F4: 7F1E418F
	buffer_load_dwordx4 a[72:75], v35, s[20:23], 0 offen       // 0000000100F8: E05C1000 80854823
	v_mul_f32_dpp v240, v252, v128 quad_perm:[0,0,0,0] row_mask:0xf bank_mask:0xf// 000000010100: 0BE100FA FF0000FC
	v_mul_f32_dpp v241, v252, v129 quad_perm:[1,1,1,1] row_mask:0xf bank_mask:0xf// 000000010108: 0BE302FA FF0055FC
	v_mul_f32_dpp v242, v252, v130 quad_perm:[2,2,2,2] row_mask:0xf bank_mask:0xf// 000000010110: 0BE504FA FF00AAFC
	v_mul_f32_dpp v243, v252, v131 quad_perm:[3,3,3,3] row_mask:0xf bank_mask:0xf// 000000010118: 0BE706FA FF00FFFC
	v_mul_f32_dpp v244, v253, v132 quad_perm:[0,0,0,0] row_mask:0xf bank_mask:0xf// 000000010120: 0BE908FA FF0000FD
	v_mul_f32_dpp v245, v253, v133 quad_perm:[1,1,1,1] row_mask:0xf bank_mask:0xf// 000000010128: 0BEB0AFA FF0055FD
	v_mul_f32_dpp v246, v253, v134 quad_perm:[2,2,2,2] row_mask:0xf bank_mask:0xf// 000000010130: 0BED0CFA FF00AAFD
	v_mul_f32_dpp v247, v253, v135 quad_perm:[3,3,3,3] row_mask:0xf bank_mask:0xf// 000000010138: 0BEF0EFA FF00FFFD
	v_mul_f32_dpp v248, v254, v136 quad_perm:[0,0,0,0] row_mask:0xf bank_mask:0xf// 000000010140: 0BF110FA FF0000FE
	v_mul_f32_dpp v249, v254, v137 quad_perm:[1,1,1,1] row_mask:0xf bank_mask:0xf// 000000010148: 0BF312FA FF0055FE
	v_mul_f32_dpp v250, v254, v138 quad_perm:[2,2,2,2] row_mask:0xf bank_mask:0xf// 000000010150: 0BF514FA FF00AAFE
	v_mul_f32_dpp v251, v254, v139 quad_perm:[3,3,3,3] row_mask:0xf bank_mask:0xf// 000000010158: 0BF716FA FF00FFFE
	v_mul_f32_dpp v252, v255, v140 quad_perm:[0,0,0,0] row_mask:0xf bank_mask:0xf// 000000010160: 0BF918FA FF0000FF
	v_mul_f32_dpp v253, v255, v141 quad_perm:[1,1,1,1] row_mask:0xf bank_mask:0xf// 000000010168: 0BFB1AFA FF0055FF
	v_mul_f32_dpp v254, v255, v142 quad_perm:[2,2,2,2] row_mask:0xf bank_mask:0xf// 000000010170: 0BFD1CFA FF00AAFF
	v_mul_f32_dpp v255, v255, v143 quad_perm:[3,3,3,3] row_mask:0xf bank_mask:0xf// 000000010178: 0BFF1EFA FF00FFFF
	v_mov_b32_e32 v62, 0x358637bd                              // 000000010180: 7E7C02FF 358637BD
	v_max3_f32 v62, |v240|, |v241|, v62                        // 000000010188: D1D3033E 04FBE3F0
	v_max3_f32 v62, |v242|, |v243|, v62                        // 000000010190: D1D3033E 04FBE7F2
	v_max3_f32 v62, |v244|, |v245|, v62                        // 000000010198: D1D3033E 04FBEBF4
	v_max3_f32 v62, |v246|, |v247|, v62                        // 0000000101A0: D1D3033E 04FBEFF6
	v_max3_f32 v62, |v248|, |v249|, v62                        // 0000000101A8: D1D3033E 04FBF3F8
	v_max3_f32 v62, |v250|, |v251|, v62                        // 0000000101B0: D1D3033E 04FBF7FA
	v_max3_f32 v62, |v252|, |v253|, v62                        // 0000000101B8: D1D3033E 04FBFBFC
	v_max3_f32 v62, |v254|, |v255|, v62                        // 0000000101C0: D1D3033E 04FBFFFE
	buffer_load_dwordx4 a[76:79], v36, s[20:23], 0 offen       // 0000000101C8: E05C1000 80854C24
	ds_write_b32 v11, v62 offset:20992                         // 0000000101D0: D81A5200 00003E0B
	v_sub_f32_e32 v63, v14, v18                                // 0000000101D8: 047E250E
	v_cndmask_b32_e64 v63, v63, 0, s[40:41]                    // 0000000101DC: D100003F 00A1013F
	v_mov_b32_e32 v14, v18                                     // 0000000101E4: 7E1C0312
	v_mul_f32_e32 v63, s64, v63                                // 0000000101E8: 0A7E7E40
	v_exp_f32_e32 v63, v63                                     // 0000000101EC: 7E7E413F
	s_waitcnt lgkmcnt(0)                                       // 0000000101F0: BF8CC07F
	s_barrier                                                  // 0000000101F4: BF8A0000
	ds_read_b32 v80, v10 offset:20992                          // 0000000101F8: D86C5200 5000000A
	ds_read_b32 v81, v10 offset:21056                          // 000000010200: D86C5240 5100000A
	ds_read_b32 v82, v10 offset:21120                          // 000000010208: D86C5280 5200000A
	ds_read_b32 v83, v10 offset:21184                          // 000000010210: D86C52C0 5300000A
	ds_read_b32 v84, v10 offset:21248                          // 000000010218: D86C5300 5400000A
	ds_read_b32 v85, v10 offset:21312                          // 000000010220: D86C5340 5500000A
	ds_read_b32 v86, v10 offset:21376                          // 000000010228: D86C5380 5600000A
	ds_read_b32 v87, v10 offset:21440                          // 000000010230: D86C53C0 5700000A
	ds_read_b32 v88, v10 offset:21504                          // 000000010238: D86C5400 5800000A
	ds_read_b32 v89, v10 offset:21568                          // 000000010240: D86C5440 5900000A
	ds_read_b32 v90, v10 offset:21632                          // 000000010248: D86C5480 5A00000A
	ds_read_b32 v91, v10 offset:21696                          // 000000010250: D86C54C0 5B00000A
	ds_read_b32 v92, v10 offset:21760                          // 000000010258: D86C5500 5C00000A
	ds_read_b32 v93, v10 offset:21824                          // 000000010260: D86C5540 5D00000A
	ds_read_b32 v94, v10 offset:21888                          // 000000010268: D86C5580 5E00000A
	ds_read_b32 v95, v10 offset:21952                          // 000000010270: D86C55C0 5F00000A
	v_mul_f32_e32 v47, v63, v47                                // 000000010278: 0A5E5F3F
	v_mov_b32_e32 v18, v128                                    // 00000001027C: 7E240380
	v_add_f32_e32 v18, v129, v18                               // 000000010280: 02242581
	v_add_f32_e32 v18, v130, v18                               // 000000010284: 02242582
	;; [unrolled: 1-line block ×3, first 2 shown]
	v_add_f32_e32 v18, v132, v18                               // 00000001028C: 02242584
	v_add_f32_e32 v18, v133, v18                               // 000000010290: 02242585
	v_add_f32_e32 v18, v134, v18                               // 000000010294: 02242586
	;; [unrolled: 1-line block ×3, first 2 shown]
	v_add_f32_e32 v18, v136, v18                               // 00000001029C: 02242588
	v_add_f32_e32 v18, v137, v18                               // 0000000102A0: 02242589
	v_add_f32_e32 v18, v138, v18                               // 0000000102A4: 0224258A
	v_add_f32_e32 v18, v139, v18                               // 0000000102A8: 0224258B
	v_add_f32_e32 v18, v140, v18                               // 0000000102AC: 0224258C
	v_add_f32_e32 v18, v141, v18                               // 0000000102B0: 0224258D
	v_add_f32_e32 v18, v142, v18                               // 0000000102B4: 0224258E
	v_add_f32_e32 v18, v143, v18                               // 0000000102B8: 0224258F
	v_add_f32_e32 v47, v18, v47                                // 0000000102BC: 025E5F12
	s_waitcnt lgkmcnt(0)                                       // 0000000102C0: BF8CC07F
	v_max3_f32 v62, |v80|, |v81|, v62                          // 0000000102C4: D1D3033E 04FAA350
	v_max3_f32 v62, |v82|, |v83|, v62                          // 0000000102CC: D1D3033E 04FAA752
	v_max3_f32 v62, |v84|, |v85|, v62                          // 0000000102D4: D1D3033E 04FAAB54
	v_max3_f32 v62, |v86|, |v87|, v62                          // 0000000102DC: D1D3033E 04FAAF56
	v_max3_f32 v62, |v88|, |v89|, v62                          // 0000000102E4: D1D3033E 04FAB358
	v_max3_f32 v62, |v90|, |v91|, v62                          // 0000000102EC: D1D3033E 04FAB75A
	v_max3_f32 v62, |v92|, |v93|, v62                          // 0000000102F4: D1D3033E 04FABB5C
	v_max3_f32 v62, |v94|, |v95|, v62                          // 0000000102FC: D1D3033E 04FABF5E
	s_nop 2                                                    // 000000010304: BF800002
	v_rcp_f32_e32 v62, v62                                     // 000000010308: 7E7C453E
	s_nop 1                                                    // 00000001030C: BF800001
	v_mul_f32_e32 v62, 0x42fe0000, v62                         // 000000010310: 0A7C7CFF 42FE0000
	v_mul_f32_e32 v128, v62, v240                              // 000000010318: 0B01E13E
	v_mul_f32_e32 v129, v62, v241                              // 00000001031C: 0B03E33E
	v_mul_f32_e32 v130, v62, v242                              // 000000010320: 0B05E53E
	v_mul_f32_e32 v131, v62, v243                              // 000000010324: 0B07E73E
	v_mul_f32_e32 v132, v62, v244                              // 000000010328: 0B09E93E
	v_mul_f32_e32 v133, v62, v245                              // 00000001032C: 0B0BEB3E
	v_mul_f32_e32 v134, v62, v246                              // 000000010330: 0B0DED3E
	v_mul_f32_e32 v135, v62, v247                              // 000000010334: 0B0FEF3E
	v_mul_f32_e32 v136, v62, v248                              // 000000010338: 0B11F13E
	v_mul_f32_e32 v137, v62, v249                              // 00000001033C: 0B13F33E
	v_mul_f32_e32 v138, v62, v250                              // 000000010340: 0B15F53E
	v_mul_f32_e32 v139, v62, v251                              // 000000010344: 0B17F73E
	v_mul_f32_e32 v140, v62, v252                              // 000000010348: 0B19F93E
	v_mul_f32_e32 v141, v62, v253                              // 00000001034C: 0B1BFB3E
	v_mul_f32_e32 v142, v62, v254                              // 000000010350: 0B1DFD3E
	v_mul_f32_e32 v143, v62, v255                              // 000000010354: 0B1FFF3E
	v_cvt_i32_f32_e32 v128, v128                               // 000000010358: 7F001180
	v_cvt_i32_f32_e32 v129, v129                               // 00000001035C: 7F021181
	v_cvt_i32_f32_e32 v130, v130                               // 000000010360: 7F041182
	v_cvt_i32_f32_e32 v131, v131                               // 000000010364: 7F061183
	v_cvt_i32_f32_e32 v132, v132                               // 000000010368: 7F081184
	v_cvt_i32_f32_e32 v133, v133                               // 00000001036C: 7F0A1185
	v_cvt_i32_f32_e32 v134, v134                               // 000000010370: 7F0C1186
	v_cvt_i32_f32_e32 v135, v135                               // 000000010374: 7F0E1187
	v_cvt_i32_f32_e32 v136, v136                               // 000000010378: 7F101188
	v_cvt_i32_f32_e32 v137, v137                               // 00000001037C: 7F121189
	v_cvt_i32_f32_e32 v138, v138                               // 000000010380: 7F14118A
	v_cvt_i32_f32_e32 v139, v139                               // 000000010384: 7F16118B
	v_cvt_i32_f32_e32 v140, v140                               // 000000010388: 7F18118C
	v_cvt_i32_f32_e32 v141, v141                               // 00000001038C: 7F1A118D
	v_cvt_i32_f32_e32 v142, v142                               // 000000010390: 7F1C118E
	v_cvt_i32_f32_e32 v143, v143                               // 000000010394: 7F1E118F
	v_perm_b32 v128, v129, v128, s53                           // 000000010398: D1ED0080 00D70181
	v_perm_b32 v128, v130, v128, s54                           // 0000000103A0: D1ED0080 00DB0182
	v_perm_b32 v128, v131, v128, s55                           // 0000000103A8: D1ED0080 00DF0183
	v_perm_b32 v129, v133, v132, s53                           // 0000000103B0: D1ED0081 00D70985
	v_perm_b32 v129, v134, v129, s54                           // 0000000103B8: D1ED0081 00DB0386
	v_perm_b32 v129, v135, v129, s55                           // 0000000103C0: D1ED0081 00DF0387
	v_perm_b32 v130, v137, v136, s53                           // 0000000103C8: D1ED0082 00D71189
	v_perm_b32 v130, v138, v130, s54                           // 0000000103D0: D1ED0082 00DB058A
	v_perm_b32 v130, v139, v130, s55                           // 0000000103D8: D1ED0082 00DF058B
	v_perm_b32 v131, v141, v140, s53                           // 0000000103E0: D1ED0083 00D7198D
	v_perm_b32 v131, v142, v131, s54                           // 0000000103E8: D1ED0083 00DB078E
	v_perm_b32 v131, v143, v131, s55                           // 0000000103F0: D1ED0083 00DF078F
	ds_write_b32 v13, v128 offset:25088                        // 0000000103F8: D81A6200 0000800D
	ds_write_b32 v13, v129 offset:26112                        // 000000010400: D81A6600 0000810D
	ds_write_b32 v13, v130 offset:27136                        // 000000010408: D81A6A00 0000820D
	ds_write_b32 v13, v131 offset:28160                        // 000000010410: D81A6E00 0000830D
	v_add_f32_e32 v224, v224, v192                             // 000000010418: 03C181E0
	v_add_f32_e32 v225, v225, v193                             // 00000001041C: 03C383E1
	v_add_f32_e32 v226, v226, v194                             // 000000010420: 03C585E2
	v_add_f32_e32 v227, v227, v195                             // 000000010424: 03C787E3
	v_add_f32_e32 v228, v228, v196                             // 000000010428: 03C989E4
	v_add_f32_e32 v229, v229, v197                             // 00000001042C: 03CB8BE5
	v_add_f32_e32 v230, v230, v198                             // 000000010430: 03CD8DE6
	v_add_f32_e32 v231, v231, v199                             // 000000010434: 03CF8FE7
	v_rcp_f32_e32 v58, v62                                     // 000000010438: 7E74453E
	s_waitcnt lgkmcnt(0)                                       // 00000001043C: BF8CC07F
	s_barrier                                                  // 000000010440: BF8A0000
	ds_read_b64 v[128:129], v12 offset:25088                   // 000000010444: D8EC6200 8000000C
	ds_read_b64 v[130:131], v12 offset:25216                   // 00000001044C: D8EC6280 8200000C
	ds_read_b64 v[132:133], v12 offset:26112                   // 000000010454: D8EC6600 8400000C
	ds_read_b64 v[134:135], v12 offset:26240                   // 00000001045C: D8EC6680 8600000C
	ds_read_b64 v[136:137], v12 offset:27136                   // 000000010464: D8EC6A00 8800000C
	ds_read_b64 v[138:139], v12 offset:27264                   // 00000001046C: D8EC6A80 8A00000C
	ds_read_b64 v[140:141], v12 offset:28160                   // 000000010474: D8EC6E00 8C00000C
	ds_read_b64 v[142:143], v12 offset:28288                   // 00000001047C: D8EC6E80 8E00000C
	v_mov_b32_dpp v41, v53 row_shr:4 row_mask:0xf bank_mask:0xf// 000000010484: 7E5202FA FF011435
	v_mov_b32_dpp v42, v53 row_shl:4 row_mask:0xf bank_mask:0xf// 00000001048C: 7E5402FA FF010435
	v_cndmask_b32_e64 v248, v53, v41, s[44:45]                 // 000000010494: D10000F8 00B25335
	v_cndmask_b32_e64 v249, v42, v53, s[44:45]                 // 00000001049C: D10000F9 00B26B2A
	v_mov_b32_dpp v41, v248 row_shr:8 row_mask:0xf bank_mask:0xf// 0000000104A4: 7E5202FA FF0118F8
	v_mov_b32_dpp v42, v248 row_shl:8 row_mask:0xf bank_mask:0xf// 0000000104AC: 7E5402FA FF0108F8
	v_mov_b32_dpp v43, v249 row_shr:8 row_mask:0xf bank_mask:0xf// 0000000104B4: 7E5602FA FF0118F9
	v_mov_b32_dpp v44, v249 row_shl:8 row_mask:0xf bank_mask:0xf// 0000000104BC: 7E5802FA FF0108F9
	v_mov_b32_e32 v45, v248                                    // 0000000104C4: 7E5A03F8
	v_mov_b32_e32 v46, v249                                    // 0000000104C8: 7E5C03F9
	v_cndmask_b32_e64 v248, v45, v41, s[42:43]                 // 0000000104CC: D10000F8 00AA532D
	v_cndmask_b32_e64 v250, v45, v42, s[78:79]                 // 0000000104D4: D10000FA 013A552D
	v_cndmask_b32_e64 v249, v46, v43, s[42:43]                 // 0000000104DC: D10000F9 00AA572E
	v_cndmask_b32_e64 v251, v46, v44, s[78:79]                 // 0000000104E4: D10000FB 013A592E
	v_mov_b32_dpp v41, v73 row_shr:4 row_mask:0xf bank_mask:0xf// 0000000104EC: 7E5202FA FF011449
	v_mov_b32_dpp v42, v73 row_shl:4 row_mask:0xf bank_mask:0xf// 0000000104F4: 7E5402FA FF010449
	v_cndmask_b32_e64 v252, v73, v41, s[44:45]                 // 0000000104FC: D10000FC 00B25349
	v_cndmask_b32_e64 v253, v42, v73, s[44:45]                 // 000000010504: D10000FD 00B2932A
	v_mov_b32_dpp v41, v252 row_shr:8 row_mask:0xf bank_mask:0xf// 00000001050C: 7E5202FA FF0118FC
	v_mov_b32_dpp v42, v252 row_shl:8 row_mask:0xf bank_mask:0xf// 000000010514: 7E5402FA FF0108FC
	v_mov_b32_dpp v43, v253 row_shr:8 row_mask:0xf bank_mask:0xf// 00000001051C: 7E5602FA FF0118FD
	v_mov_b32_dpp v44, v253 row_shl:8 row_mask:0xf bank_mask:0xf// 000000010524: 7E5802FA FF0108FD
	v_mov_b32_e32 v45, v252                                    // 00000001052C: 7E5A03FC
	v_mov_b32_e32 v46, v253                                    // 000000010530: 7E5C03FD
	v_cndmask_b32_e64 v252, v45, v41, s[42:43]                 // 000000010534: D10000FC 00AA532D
	v_cndmask_b32_e64 v254, v45, v42, s[78:79]                 // 00000001053C: D10000FE 013A552D
	v_cndmask_b32_e64 v253, v46, v43, s[42:43]                 // 000000010544: D10000FD 00AA572E
	v_cndmask_b32_e64 v255, v46, v44, s[78:79]                 // 00000001054C: D10000FF 013A592E
	v_cvt_f32_i32_e32 v144, v144                               // 000000010554: 7F200B90
	v_cvt_f32_i32_e32 v145, v145                               // 000000010558: 7F220B91
	v_cvt_f32_i32_e32 v146, v146                               // 00000001055C: 7F240B92
	v_cvt_f32_i32_e32 v147, v147                               // 000000010560: 7F260B93
	v_cvt_f32_i32_e32 v148, v148                               // 000000010564: 7F280B94
	v_cvt_f32_i32_e32 v149, v149                               // 000000010568: 7F2A0B95
	v_cvt_f32_i32_e32 v150, v150                               // 00000001056C: 7F2C0B96
	v_cvt_f32_i32_e32 v151, v151                               // 000000010570: 7F2E0B97
	v_cvt_f32_i32_e32 v152, v152                               // 000000010574: 7F300B98
	v_cvt_f32_i32_e32 v153, v153                               // 000000010578: 7F320B99
	v_cvt_f32_i32_e32 v154, v154                               // 00000001057C: 7F340B9A
	v_cvt_f32_i32_e32 v155, v155                               // 000000010580: 7F360B9B
	v_cvt_f32_i32_e32 v156, v156                               // 000000010584: 7F380B9C
	v_cvt_f32_i32_e32 v157, v157                               // 000000010588: 7F3A0B9D
	v_cvt_f32_i32_e32 v158, v158                               // 00000001058C: 7F3C0B9E
	v_cvt_f32_i32_e32 v159, v159                               // 000000010590: 7F3E0B9F
	v_mul_f32_e32 v144, v55, v144                              // 000000010594: 0B212137
	v_mul_f32_e32 v145, v55, v145                              // 000000010598: 0B232337
	v_mul_f32_e32 v146, v55, v146                              // 00000001059C: 0B252537
	v_mul_f32_e32 v147, v55, v147                              // 0000000105A0: 0B272737
	v_mul_f32_e32 v148, v55, v148                              // 0000000105A4: 0B292937
	v_mul_f32_e32 v149, v55, v149                              // 0000000105A8: 0B2B2B37
	v_mul_f32_e32 v150, v55, v150                              // 0000000105AC: 0B2D2D37
	v_mul_f32_e32 v151, v55, v151                              // 0000000105B0: 0B2F2F37
	v_mul_f32_e32 v152, v55, v152                              // 0000000105B4: 0B313137
	v_mul_f32_e32 v153, v55, v153                              // 0000000105B8: 0B333337
	v_mul_f32_e32 v154, v55, v154                              // 0000000105BC: 0B353537
	v_mul_f32_e32 v155, v55, v155                              // 0000000105C0: 0B373737
	v_mul_f32_e32 v156, v55, v156                              // 0000000105C4: 0B393937
	v_mul_f32_e32 v157, v55, v157                              // 0000000105C8: 0B3B3B37
	v_mul_f32_e32 v158, v55, v158                              // 0000000105CC: 0B3D3D37
	v_mul_f32_e32 v159, v55, v159                              // 0000000105D0: 0B3F3F37
	v_mul_f32_dpp v144, v248, v144 quad_perm:[0,0,0,0] row_mask:0xf bank_mask:0xf// 0000000105D4: 0B2120FA FF0000F8
	v_mul_f32_dpp v145, v248, v145 quad_perm:[1,1,1,1] row_mask:0xf bank_mask:0xf// 0000000105DC: 0B2322FA FF0055F8
	v_mul_f32_dpp v146, v248, v146 quad_perm:[2,2,2,2] row_mask:0xf bank_mask:0xf// 0000000105E4: 0B2524FA FF00AAF8
	v_mul_f32_dpp v147, v248, v147 quad_perm:[3,3,3,3] row_mask:0xf bank_mask:0xf// 0000000105EC: 0B2726FA FF00FFF8
	v_mul_f32_dpp v148, v249, v148 quad_perm:[0,0,0,0] row_mask:0xf bank_mask:0xf// 0000000105F4: 0B2928FA FF0000F9
	v_mul_f32_dpp v149, v249, v149 quad_perm:[1,1,1,1] row_mask:0xf bank_mask:0xf// 0000000105FC: 0B2B2AFA FF0055F9
	v_mul_f32_dpp v150, v249, v150 quad_perm:[2,2,2,2] row_mask:0xf bank_mask:0xf// 000000010604: 0B2D2CFA FF00AAF9
	v_mul_f32_dpp v151, v249, v151 quad_perm:[3,3,3,3] row_mask:0xf bank_mask:0xf// 00000001060C: 0B2F2EFA FF00FFF9
	v_mul_f32_dpp v152, v250, v152 quad_perm:[0,0,0,0] row_mask:0xf bank_mask:0xf// 000000010614: 0B3130FA FF0000FA
	v_mul_f32_dpp v153, v250, v153 quad_perm:[1,1,1,1] row_mask:0xf bank_mask:0xf// 00000001061C: 0B3332FA FF0055FA
	v_mul_f32_dpp v154, v250, v154 quad_perm:[2,2,2,2] row_mask:0xf bank_mask:0xf// 000000010624: 0B3534FA FF00AAFA
	v_mul_f32_dpp v155, v250, v155 quad_perm:[3,3,3,3] row_mask:0xf bank_mask:0xf// 00000001062C: 0B3736FA FF00FFFA
	v_mul_f32_dpp v156, v251, v156 quad_perm:[0,0,0,0] row_mask:0xf bank_mask:0xf// 000000010634: 0B3938FA FF0000FB
	v_mul_f32_dpp v157, v251, v157 quad_perm:[1,1,1,1] row_mask:0xf bank_mask:0xf// 00000001063C: 0B3B3AFA FF0055FB
	v_mul_f32_dpp v158, v251, v158 quad_perm:[2,2,2,2] row_mask:0xf bank_mask:0xf// 000000010644: 0B3D3CFA FF00AAFB
	v_mul_f32_dpp v159, v251, v159 quad_perm:[3,3,3,3] row_mask:0xf bank_mask:0xf// 00000001064C: 0B3F3EFA FF00FFFB
	s_cmp_le_i32 s90, s89                                      // 000000010654: BF05595A
	s_cbranch_scc1 label_398A                                  // 000000010658: BF850073
	v_mov_b32_e32 v69, 0xff800000                              // 00000001065C: 7E8A02FF FF800000
	s_mov_b32 s60, s90                                         // 000000010664: BEBC005A
	s_add_u32 s61, s89, 0xff                                   // 000000010668: 803DFF59 000000FF
	v_mov_b32_e32 v41, s61                                     // 000000010670: 7E52023D
	v_lshrrev_b32_e32 v240, 4, v0                              // 000000010674: 21E00084
	v_mul_i32_i24_e32 v240, 4, v240                            // 000000010678: 0DE1E084
	v_add_u32_e32 v240, s60, v240                              // 00000001067C: 69E1E03C
	v_and_b32_e32 v42, 15, v0                                  // 000000010680: 2654008F
	v_lshrrev_b32_e32 v42, 3, v42                              // 000000010684: 20545483
	s_mov_b32 s61, 2                                           // 000000010688: BEBD0082
	s_mul_i32 s60, 16, s7                                      // 00000001068C: 923C0790
	v_add_u32_e32 v42, s61, v42                                // 000000010690: 6854543D
	v_sub_u32_e32 v240, v240, v42                              // 000000010694: 6BE055F0
	v_add_u32_e32 v240, s60, v240                              // 000000010698: 69E1E03C
	v_add_u32_e32 v241, 1, v240                                // 00000001069C: 69E3E081
	v_add_u32_e32 v242, 2, v240                                // 0000000106A0: 69E5E082
	v_add_u32_e32 v243, 3, v240                                // 0000000106A4: 69E7E083
	v_cmp_le_u32_e64 s[40:41], v240, v41                       // 0000000106A8: D0CB0028 000253F0
	v_add_u32_e32 v240, 64, v240                               // 0000000106B0: 69E1E0C0
	s_nop 0                                                    // 0000000106B4: BF800000
	v_cndmask_b32_e64 v144, v69, v144, s[40:41]                // 0000000106B8: D1000090 00A32145
	v_cmp_le_u32_e64 s[40:41], v241, v41                       // 0000000106C0: D0CB0028 000253F1
	v_add_u32_e32 v241, 64, v241                               // 0000000106C8: 69E3E2C0
	s_nop 0                                                    // 0000000106CC: BF800000
	v_cndmask_b32_e64 v145, v69, v145, s[40:41]                // 0000000106D0: D1000091 00A32345
	v_cmp_le_u32_e64 s[40:41], v242, v41                       // 0000000106D8: D0CB0028 000253F2
	v_add_u32_e32 v242, 64, v242                               // 0000000106E0: 69E5E4C0
	s_nop 0                                                    // 0000000106E4: BF800000
	v_cndmask_b32_e64 v146, v69, v146, s[40:41]                // 0000000106E8: D1000092 00A32545
	v_cmp_le_u32_e64 s[40:41], v243, v41                       // 0000000106F0: D0CB0028 000253F3
	v_add_u32_e32 v243, 64, v243                               // 0000000106F8: 69E7E6C0
	s_nop 0                                                    // 0000000106FC: BF800000
	v_cndmask_b32_e64 v147, v69, v147, s[40:41]                // 000000010700: D1000093 00A32745
	v_cmp_le_u32_e64 s[40:41], v240, v41                       // 000000010708: D0CB0028 000253F0
	v_add_u32_e32 v240, 64, v240                               // 000000010710: 69E1E0C0
	s_nop 0                                                    // 000000010714: BF800000
	v_cndmask_b32_e64 v148, v69, v148, s[40:41]                // 000000010718: D1000094 00A32945
	v_cmp_le_u32_e64 s[40:41], v241, v41                       // 000000010720: D0CB0028 000253F1
	v_add_u32_e32 v241, 64, v241                               // 000000010728: 69E3E2C0
	s_nop 0                                                    // 00000001072C: BF800000
	v_cndmask_b32_e64 v149, v69, v149, s[40:41]                // 000000010730: D1000095 00A32B45
	v_cmp_le_u32_e64 s[40:41], v242, v41                       // 000000010738: D0CB0028 000253F2
	v_add_u32_e32 v242, 64, v242                               // 000000010740: 69E5E4C0
	s_nop 0                                                    // 000000010744: BF800000
	v_cndmask_b32_e64 v150, v69, v150, s[40:41]                // 000000010748: D1000096 00A32D45
	v_cmp_le_u32_e64 s[40:41], v243, v41                       // 000000010750: D0CB0028 000253F3
	v_add_u32_e32 v243, 64, v243                               // 000000010758: 69E7E6C0
	s_nop 0                                                    // 00000001075C: BF800000
	v_cndmask_b32_e64 v151, v69, v151, s[40:41]                // 000000010760: D1000097 00A32F45
	v_cmp_le_u32_e64 s[40:41], v240, v41                       // 000000010768: D0CB0028 000253F0
	v_add_u32_e32 v240, 64, v240                               // 000000010770: 69E1E0C0
	s_nop 0                                                    // 000000010774: BF800000
	v_cndmask_b32_e64 v152, v69, v152, s[40:41]                // 000000010778: D1000098 00A33145
	v_cmp_le_u32_e64 s[40:41], v241, v41                       // 000000010780: D0CB0028 000253F1
	v_add_u32_e32 v241, 64, v241                               // 000000010788: 69E3E2C0
	s_nop 0                                                    // 00000001078C: BF800000
	v_cndmask_b32_e64 v153, v69, v153, s[40:41]                // 000000010790: D1000099 00A33345
	v_cmp_le_u32_e64 s[40:41], v242, v41                       // 000000010798: D0CB0028 000253F2
	v_add_u32_e32 v242, 64, v242                               // 0000000107A0: 69E5E4C0
	s_nop 0                                                    // 0000000107A4: BF800000
	v_cndmask_b32_e64 v154, v69, v154, s[40:41]                // 0000000107A8: D100009A 00A33545
	v_cmp_le_u32_e64 s[40:41], v243, v41                       // 0000000107B0: D0CB0028 000253F3
	v_add_u32_e32 v243, 64, v243                               // 0000000107B8: 69E7E6C0
	s_nop 0                                                    // 0000000107BC: BF800000
	v_cndmask_b32_e64 v155, v69, v155, s[40:41]                // 0000000107C0: D100009B 00A33745
	v_cmp_le_u32_e64 s[40:41], v240, v41                       // 0000000107C8: D0CB0028 000253F0
	v_add_u32_e32 v240, 64, v240                               // 0000000107D0: 69E1E0C0
	s_nop 0                                                    // 0000000107D4: BF800000
	v_cndmask_b32_e64 v156, v69, v156, s[40:41]                // 0000000107D8: D100009C 00A33945
	v_cmp_le_u32_e64 s[40:41], v241, v41                       // 0000000107E0: D0CB0028 000253F1
	v_add_u32_e32 v241, 64, v241                               // 0000000107E8: 69E3E2C0
	s_nop 0                                                    // 0000000107EC: BF800000
	v_cndmask_b32_e64 v157, v69, v157, s[40:41]                // 0000000107F0: D100009D 00A33B45
	v_cmp_le_u32_e64 s[40:41], v242, v41                       // 0000000107F8: D0CB0028 000253F2
	v_add_u32_e32 v242, 64, v242                               // 000000010800: 69E5E4C0
	s_nop 0                                                    // 000000010804: BF800000
	v_cndmask_b32_e64 v158, v69, v158, s[40:41]                // 000000010808: D100009E 00A33D45
	v_cmp_le_u32_e64 s[40:41], v243, v41                       // 000000010810: D0CB0028 000253F3
	v_add_u32_e32 v243, 64, v243                               // 000000010818: 69E7E6C0
	s_nop 0                                                    // 00000001081C: BF800000
	v_cndmask_b32_e64 v159, v69, v159, s[40:41]                // 000000010820: D100009F 00A33F45

0000000000010828 <label_398A>:
	s_add_u32 s90, s91, s90                                    // 000000010828: 805A5A5B
	v_mov_b32_e32 v62, v144                                    // 00000001082C: 7E7C0390
	v_max3_f32 v62, v144, v145, v62                            // 000000010830: D1D3003E 04FB2390
	v_max3_f32 v62, v146, v147, v62                            // 000000010838: D1D3003E 04FB2792
	v_max3_f32 v62, v148, v149, v62                            // 000000010840: D1D3003E 04FB2B94
	v_max3_f32 v62, v150, v151, v62                            // 000000010848: D1D3003E 04FB2F96
	v_max3_f32 v62, v152, v153, v62                            // 000000010850: D1D3003E 04FB3398
	v_max3_f32 v62, v154, v155, v62                            // 000000010858: D1D3003E 04FB379A
	v_max3_f32 v62, v156, v157, v62                            // 000000010860: D1D3003E 04FB3B9C
	v_max3_f32 v62, v158, v159, v62                            // 000000010868: D1D3003E 04FB3F9E
	ds_write_b32 v11, v62 offset:16896                         // 000000010870: D81A4200 00003E0B
	v_mul_f32_e32 v232, v64, v232                              // 000000010878: 0BD1D140
	v_mul_f32_e32 v233, v64, v233                              // 00000001087C: 0BD3D340
	v_mul_f32_e32 v234, v64, v234                              // 000000010880: 0BD5D540
	v_mul_f32_e32 v235, v64, v235                              // 000000010884: 0BD7D740
	v_mul_f32_e32 v236, v64, v236                              // 000000010888: 0BD9D940
	v_mul_f32_e32 v237, v64, v237                              // 00000001088C: 0BDBDB40
	v_mul_f32_e32 v238, v64, v238                              // 000000010890: 0BDDDD40
	v_mul_f32_e32 v239, v64, v239                              // 000000010894: 0BDFDF40
	s_waitcnt lgkmcnt(0)                                       // 000000010898: BF8CC07F
	s_barrier                                                  // 00000001089C: BF8A0000
	ds_read_b32 v80, v10 offset:16896                          // 0000000108A0: D86C4200 5000000A
	ds_read_b32 v81, v10 offset:16960                          // 0000000108A8: D86C4240 5100000A
	ds_read_b32 v82, v10 offset:17024                          // 0000000108B0: D86C4280 5200000A
	ds_read_b32 v83, v10 offset:17088                          // 0000000108B8: D86C42C0 5300000A
	ds_read_b32 v84, v10 offset:17152                          // 0000000108C0: D86C4300 5400000A
	ds_read_b32 v85, v10 offset:17216                          // 0000000108C8: D86C4340 5500000A
	ds_read_b32 v86, v10 offset:17280                          // 0000000108D0: D86C4380 5600000A
	ds_read_b32 v87, v10 offset:17344                          // 0000000108D8: D86C43C0 5700000A
	ds_read_b32 v88, v10 offset:17408                          // 0000000108E0: D86C4400 5800000A
	ds_read_b32 v89, v10 offset:17472                          // 0000000108E8: D86C4440 5900000A
	ds_read_b32 v90, v10 offset:17536                          // 0000000108F0: D86C4480 5A00000A
	ds_read_b32 v91, v10 offset:17600                          // 0000000108F8: D86C44C0 5B00000A
	ds_read_b32 v92, v10 offset:17664                          // 000000010900: D86C4500 5C00000A
	ds_read_b32 v93, v10 offset:17728                          // 000000010908: D86C4540 5D00000A
	ds_read_b32 v94, v10 offset:17792                          // 000000010910: D86C4580 5E00000A
	ds_read_b32 v95, v10 offset:17856                          // 000000010918: D86C45C0 5F00000A
	v_cvt_f32_i32_e32 v200, v200                               // 000000010920: 7F900BC8
	v_cvt_f32_i32_e32 v201, v201                               // 000000010924: 7F920BC9
	v_cvt_f32_i32_e32 v202, v202                               // 000000010928: 7F940BCA
	v_cvt_f32_i32_e32 v203, v203                               // 00000001092C: 7F960BCB
	v_cvt_f32_i32_e32 v204, v204                               // 000000010930: 7F980BCC
	v_cvt_f32_i32_e32 v205, v205                               // 000000010934: 7F9A0BCD
	v_cvt_f32_i32_e32 v206, v206                               // 000000010938: 7F9C0BCE
	v_cvt_f32_i32_e32 v207, v207                               // 00000001093C: 7F9E0BCF
	v_mul_f32_e32 v200, v59, v200                              // 000000010940: 0B91913B
	v_mul_f32_e32 v201, v59, v201                              // 000000010944: 0B93933B
	v_mul_f32_e32 v202, v59, v202                              // 000000010948: 0B95953B
	v_mul_f32_e32 v203, v59, v203                              // 00000001094C: 0B97973B
	v_mul_f32_e32 v204, v59, v204                              // 000000010950: 0B99993B
	v_mul_f32_e32 v205, v59, v205                              // 000000010954: 0B9B9B3B
	v_mul_f32_e32 v206, v59, v206                              // 000000010958: 0B9D9D3B
	v_mul_f32_e32 v207, v59, v207                              // 00000001095C: 0B9F9F3B
	s_waitcnt lgkmcnt(0)                                       // 000000010960: BF8CC07F
	v_max3_f32 v62, v80, v81, v62                              // 000000010964: D1D3003E 04FAA350
	v_max3_f32 v62, v82, v83, v62                              // 00000001096C: D1D3003E 04FAA752
	v_max3_f32 v62, v84, v85, v62                              // 000000010974: D1D3003E 04FAAB54
	v_max3_f32 v62, v86, v87, v62                              // 00000001097C: D1D3003E 04FAAF56
	v_max3_f32 v62, v88, v89, v62                              // 000000010984: D1D3003E 04FAB358
	v_max3_f32 v62, v90, v91, v62                              // 00000001098C: D1D3003E 04FAB75A
	v_max3_f32 v62, v92, v93, v62                              // 000000010994: D1D3003E 04FABB5C
	v_max3_f32 v62, v94, v95, v62                              // 00000001099C: D1D3003E 04FABF5E
	v_mov_b32_e32 v41, 0xff800000                              // 0000000109A4: 7E5202FF FF800000
	v_cmp_eq_u32_e64 s[40:41], v41, v15                        // 0000000109AC: D0CA0028 00021F29
	s_nop 1                                                    // 0000000109B4: BF800001
	v_max_f32_e32 v18, v62, v15                                // 0000000109B8: 16241F3E
	v_mul_f32_e32 v67, s64, v18                                // 0000000109BC: 0A862440
	v_fma_f32 v144, v144, s64, -v67                            // 0000000109C0: D1CB0090 850C8190
	v_fma_f32 v145, v145, s64, -v67                            // 0000000109C8: D1CB0091 850C8191
	v_fma_f32 v146, v146, s64, -v67                            // 0000000109D0: D1CB0092 850C8192
	v_fma_f32 v147, v147, s64, -v67                            // 0000000109D8: D1CB0093 850C8193
	v_fma_f32 v148, v148, s64, -v67                            // 0000000109E0: D1CB0094 850C8194
	v_fma_f32 v149, v149, s64, -v67                            // 0000000109E8: D1CB0095 850C8195
	v_fma_f32 v150, v150, s64, -v67                            // 0000000109F0: D1CB0096 850C8196
	v_fma_f32 v151, v151, s64, -v67                            // 0000000109F8: D1CB0097 850C8197
	v_fma_f32 v152, v152, s64, -v67                            // 000000010A00: D1CB0098 850C8198
	v_fma_f32 v153, v153, s64, -v67                            // 000000010A08: D1CB0099 850C8199
	v_fma_f32 v154, v154, s64, -v67                            // 000000010A10: D1CB009A 850C819A
	v_fma_f32 v155, v155, s64, -v67                            // 000000010A18: D1CB009B 850C819B
	v_fma_f32 v156, v156, s64, -v67                            // 000000010A20: D1CB009C 850C819C
	v_fma_f32 v157, v157, s64, -v67                            // 000000010A28: D1CB009D 850C819D
	v_fma_f32 v158, v158, s64, -v67                            // 000000010A30: D1CB009E 850C819E
	v_fma_f32 v159, v159, s64, -v67                            // 000000010A38: D1CB009F 850C819F
	v_exp_f32_e32 v144, v144                                   // 000000010A40: 7F204190
	v_exp_f32_e32 v145, v145                                   // 000000010A44: 7F224191
	v_exp_f32_e32 v146, v146                                   // 000000010A48: 7F244192
	v_exp_f32_e32 v147, v147                                   // 000000010A4C: 7F264193
	v_exp_f32_e32 v148, v148                                   // 000000010A50: 7F284194
	v_exp_f32_e32 v149, v149                                   // 000000010A54: 7F2A4195
	v_exp_f32_e32 v150, v150                                   // 000000010A58: 7F2C4196
	v_exp_f32_e32 v151, v151                                   // 000000010A5C: 7F2E4197
	v_exp_f32_e32 v152, v152                                   // 000000010A60: 7F304198
	v_exp_f32_e32 v153, v153                                   // 000000010A64: 7F324199
	v_exp_f32_e32 v154, v154                                   // 000000010A68: 7F34419A
	v_exp_f32_e32 v155, v155                                   // 000000010A6C: 7F36419B
	v_exp_f32_e32 v156, v156                                   // 000000010A70: 7F38419C
	v_exp_f32_e32 v157, v157                                   // 000000010A74: 7F3A419D
	v_exp_f32_e32 v158, v158                                   // 000000010A78: 7F3C419E
	v_exp_f32_e32 v159, v159                                   // 000000010A7C: 7F3E419F
	v_mul_f32_dpp v240, v252, v144 quad_perm:[0,0,0,0] row_mask:0xf bank_mask:0xf// 000000010A80: 0BE120FA FF0000FC
	v_mul_f32_dpp v241, v252, v145 quad_perm:[1,1,1,1] row_mask:0xf bank_mask:0xf// 000000010A88: 0BE322FA FF0055FC
	v_mul_f32_dpp v242, v252, v146 quad_perm:[2,2,2,2] row_mask:0xf bank_mask:0xf// 000000010A90: 0BE524FA FF00AAFC
	v_mul_f32_dpp v243, v252, v147 quad_perm:[3,3,3,3] row_mask:0xf bank_mask:0xf// 000000010A98: 0BE726FA FF00FFFC
	v_mul_f32_dpp v244, v253, v148 quad_perm:[0,0,0,0] row_mask:0xf bank_mask:0xf// 000000010AA0: 0BE928FA FF0000FD
	v_mul_f32_dpp v245, v253, v149 quad_perm:[1,1,1,1] row_mask:0xf bank_mask:0xf// 000000010AA8: 0BEB2AFA FF0055FD
	v_mul_f32_dpp v246, v253, v150 quad_perm:[2,2,2,2] row_mask:0xf bank_mask:0xf// 000000010AB0: 0BED2CFA FF00AAFD
	v_mul_f32_dpp v247, v253, v151 quad_perm:[3,3,3,3] row_mask:0xf bank_mask:0xf// 000000010AB8: 0BEF2EFA FF00FFFD
	v_mul_f32_dpp v248, v254, v152 quad_perm:[0,0,0,0] row_mask:0xf bank_mask:0xf// 000000010AC0: 0BF130FA FF0000FE
	v_mul_f32_dpp v249, v254, v153 quad_perm:[1,1,1,1] row_mask:0xf bank_mask:0xf// 000000010AC8: 0BF332FA FF0055FE
	v_mul_f32_dpp v250, v254, v154 quad_perm:[2,2,2,2] row_mask:0xf bank_mask:0xf// 000000010AD0: 0BF534FA FF00AAFE
	v_mul_f32_dpp v251, v254, v155 quad_perm:[3,3,3,3] row_mask:0xf bank_mask:0xf// 000000010AD8: 0BF736FA FF00FFFE
	v_mul_f32_dpp v252, v255, v156 quad_perm:[0,0,0,0] row_mask:0xf bank_mask:0xf// 000000010AE0: 0BF938FA FF0000FF
	v_mul_f32_dpp v253, v255, v157 quad_perm:[1,1,1,1] row_mask:0xf bank_mask:0xf// 000000010AE8: 0BFB3AFA FF0055FF
	v_mul_f32_dpp v254, v255, v158 quad_perm:[2,2,2,2] row_mask:0xf bank_mask:0xf// 000000010AF0: 0BFD3CFA FF00AAFF
	v_mul_f32_dpp v255, v255, v159 quad_perm:[3,3,3,3] row_mask:0xf bank_mask:0xf// 000000010AF8: 0BFF3EFA FF00FFFF
	v_mov_b32_e32 v62, 0x358637bd                              // 000000010B00: 7E7C02FF 358637BD
	v_max3_f32 v62, |v240|, |v241|, v62                        // 000000010B08: D1D3033E 04FBE3F0
	v_max3_f32 v62, |v242|, |v243|, v62                        // 000000010B10: D1D3033E 04FBE7F2
	v_max3_f32 v62, |v244|, |v245|, v62                        // 000000010B18: D1D3033E 04FBEBF4
	v_max3_f32 v62, |v246|, |v247|, v62                        // 000000010B20: D1D3033E 04FBEFF6
	v_max3_f32 v62, |v248|, |v249|, v62                        // 000000010B28: D1D3033E 04FBF3F8
	v_max3_f32 v62, |v250|, |v251|, v62                        // 000000010B30: D1D3033E 04FBF7FA
	v_max3_f32 v62, |v252|, |v253|, v62                        // 000000010B38: D1D3033E 04FBFBFC
	v_max3_f32 v62, |v254|, |v255|, v62                        // 000000010B40: D1D3033E 04FBFFFE
	ds_write_b32 v11, v62 offset:20992                         // 000000010B48: D81A5200 00003E0B
	v_sub_f32_e32 v64, v15, v18                                // 000000010B50: 0480250F
	v_cndmask_b32_e64 v64, v64, 0, s[40:41]                    // 000000010B54: D1000040 00A10140
	v_mov_b32_e32 v15, v18                                     // 000000010B5C: 7E1E0312
	v_mul_f32_e32 v64, s64, v64                                // 000000010B60: 0A808040
	v_exp_f32_e32 v64, v64                                     // 000000010B64: 7E804140
	s_waitcnt lgkmcnt(0)                                       // 000000010B68: BF8CC07F
	s_barrier                                                  // 000000010B6C: BF8A0000
	ds_read_b32 v80, v10 offset:20992                          // 000000010B70: D86C5200 5000000A
	ds_read_b32 v81, v10 offset:21056                          // 000000010B78: D86C5240 5100000A
	ds_read_b32 v82, v10 offset:21120                          // 000000010B80: D86C5280 5200000A
	ds_read_b32 v83, v10 offset:21184                          // 000000010B88: D86C52C0 5300000A
	ds_read_b32 v84, v10 offset:21248                          // 000000010B90: D86C5300 5400000A
	ds_read_b32 v85, v10 offset:21312                          // 000000010B98: D86C5340 5500000A
	ds_read_b32 v86, v10 offset:21376                          // 000000010BA0: D86C5380 5600000A
	ds_read_b32 v87, v10 offset:21440                          // 000000010BA8: D86C53C0 5700000A
	ds_read_b32 v88, v10 offset:21504                          // 000000010BB0: D86C5400 5800000A
	ds_read_b32 v89, v10 offset:21568                          // 000000010BB8: D86C5440 5900000A
	ds_read_b32 v90, v10 offset:21632                          // 000000010BC0: D86C5480 5A00000A
	ds_read_b32 v91, v10 offset:21696                          // 000000010BC8: D86C54C0 5B00000A
	ds_read_b32 v92, v10 offset:21760                          // 000000010BD0: D86C5500 5C00000A
	ds_read_b32 v93, v10 offset:21824                          // 000000010BD8: D86C5540 5D00000A
	ds_read_b32 v94, v10 offset:21888                          // 000000010BE0: D86C5580 5E00000A
	ds_read_b32 v95, v10 offset:21952                          // 000000010BE8: D86C55C0 5F00000A
	v_mul_f32_e32 v48, v64, v48                                // 000000010BF0: 0A606140
	v_mov_b32_e32 v18, v144                                    // 000000010BF4: 7E240390
	v_add_f32_e32 v18, v145, v18                               // 000000010BF8: 02242591
	v_add_f32_e32 v18, v146, v18                               // 000000010BFC: 02242592
	v_add_f32_e32 v18, v147, v18                               // 000000010C00: 02242593
	v_add_f32_e32 v18, v148, v18                               // 000000010C04: 02242594
	v_add_f32_e32 v18, v149, v18                               // 000000010C08: 02242595
	v_add_f32_e32 v18, v150, v18                               // 000000010C0C: 02242596
	v_add_f32_e32 v18, v151, v18                               // 000000010C10: 02242597
	v_add_f32_e32 v18, v152, v18                               // 000000010C14: 02242598
	v_add_f32_e32 v18, v153, v18                               // 000000010C18: 02242599
	v_add_f32_e32 v18, v154, v18                               // 000000010C1C: 0224259A
	v_add_f32_e32 v18, v155, v18                               // 000000010C20: 0224259B
	v_add_f32_e32 v18, v156, v18                               // 000000010C24: 0224259C
	v_add_f32_e32 v18, v157, v18                               // 000000010C28: 0224259D
	v_add_f32_e32 v18, v158, v18                               // 000000010C2C: 0224259E
	v_add_f32_e32 v18, v159, v18                               // 000000010C30: 0224259F
	v_add_f32_e32 v48, v18, v48                                // 000000010C34: 02606112
	s_waitcnt lgkmcnt(0)                                       // 000000010C38: BF8CC07F
	v_max3_f32 v62, |v80|, |v81|, v62                          // 000000010C3C: D1D3033E 04FAA350
	v_max3_f32 v62, |v82|, |v83|, v62                          // 000000010C44: D1D3033E 04FAA752
	v_max3_f32 v62, |v84|, |v85|, v62                          // 000000010C4C: D1D3033E 04FAAB54
	v_max3_f32 v62, |v86|, |v87|, v62                          // 000000010C54: D1D3033E 04FAAF56
	v_max3_f32 v62, |v88|, |v89|, v62                          // 000000010C5C: D1D3033E 04FAB358
	v_max3_f32 v62, |v90|, |v91|, v62                          // 000000010C64: D1D3033E 04FAB75A
	v_max3_f32 v62, |v92|, |v93|, v62                          // 000000010C6C: D1D3033E 04FABB5C
	v_max3_f32 v62, |v94|, |v95|, v62                          // 000000010C74: D1D3033E 04FABF5E
	s_nop 2                                                    // 000000010C7C: BF800002
	v_rcp_f32_e32 v62, v62                                     // 000000010C80: 7E7C453E
	s_nop 1                                                    // 000000010C84: BF800001
	v_mul_f32_e32 v62, 0x42fe0000, v62                         // 000000010C88: 0A7C7CFF 42FE0000
	v_mul_f32_e32 v144, v62, v240                              // 000000010C90: 0B21E13E
	v_mul_f32_e32 v145, v62, v241                              // 000000010C94: 0B23E33E
	v_mul_f32_e32 v146, v62, v242                              // 000000010C98: 0B25E53E
	v_mul_f32_e32 v147, v62, v243                              // 000000010C9C: 0B27E73E
	v_mul_f32_e32 v148, v62, v244                              // 000000010CA0: 0B29E93E
	v_mul_f32_e32 v149, v62, v245                              // 000000010CA4: 0B2BEB3E
	v_mul_f32_e32 v150, v62, v246                              // 000000010CA8: 0B2DED3E
	v_mul_f32_e32 v151, v62, v247                              // 000000010CAC: 0B2FEF3E
	v_mul_f32_e32 v152, v62, v248                              // 000000010CB0: 0B31F13E
	v_mul_f32_e32 v153, v62, v249                              // 000000010CB4: 0B33F33E
	v_mul_f32_e32 v154, v62, v250                              // 000000010CB8: 0B35F53E
	v_mul_f32_e32 v155, v62, v251                              // 000000010CBC: 0B37F73E
	v_mul_f32_e32 v156, v62, v252                              // 000000010CC0: 0B39F93E
	v_mul_f32_e32 v157, v62, v253                              // 000000010CC4: 0B3BFB3E
	v_mul_f32_e32 v158, v62, v254                              // 000000010CC8: 0B3DFD3E
	v_mul_f32_e32 v159, v62, v255                              // 000000010CCC: 0B3FFF3E
	v_cvt_i32_f32_e32 v144, v144                               // 000000010CD0: 7F201190
	v_cvt_i32_f32_e32 v145, v145                               // 000000010CD4: 7F221191
	v_cvt_i32_f32_e32 v146, v146                               // 000000010CD8: 7F241192
	v_cvt_i32_f32_e32 v147, v147                               // 000000010CDC: 7F261193
	v_cvt_i32_f32_e32 v148, v148                               // 000000010CE0: 7F281194
	v_cvt_i32_f32_e32 v149, v149                               // 000000010CE4: 7F2A1195
	v_cvt_i32_f32_e32 v150, v150                               // 000000010CE8: 7F2C1196
	v_cvt_i32_f32_e32 v151, v151                               // 000000010CEC: 7F2E1197
	v_cvt_i32_f32_e32 v152, v152                               // 000000010CF0: 7F301198
	v_cvt_i32_f32_e32 v153, v153                               // 000000010CF4: 7F321199
	v_cvt_i32_f32_e32 v154, v154                               // 000000010CF8: 7F34119A
	v_cvt_i32_f32_e32 v155, v155                               // 000000010CFC: 7F36119B
	v_cvt_i32_f32_e32 v156, v156                               // 000000010D00: 7F38119C
	v_cvt_i32_f32_e32 v157, v157                               // 000000010D04: 7F3A119D
	v_cvt_i32_f32_e32 v158, v158                               // 000000010D08: 7F3C119E
	v_cvt_i32_f32_e32 v159, v159                               // 000000010D0C: 7F3E119F
	v_perm_b32 v144, v145, v144, s53                           // 000000010D10: D1ED0090 00D72191
	v_perm_b32 v144, v146, v144, s54                           // 000000010D18: D1ED0090 00DB2192
	v_perm_b32 v144, v147, v144, s55                           // 000000010D20: D1ED0090 00DF2193
	v_perm_b32 v145, v149, v148, s53                           // 000000010D28: D1ED0091 00D72995
	v_perm_b32 v145, v150, v145, s54                           // 000000010D30: D1ED0091 00DB2396
	v_perm_b32 v145, v151, v145, s55                           // 000000010D38: D1ED0091 00DF2397
	v_perm_b32 v146, v153, v152, s53                           // 000000010D40: D1ED0092 00D73199
	v_perm_b32 v146, v154, v146, s54                           // 000000010D48: D1ED0092 00DB259A
	v_perm_b32 v146, v155, v146, s55                           // 000000010D50: D1ED0092 00DF259B
	v_perm_b32 v147, v157, v156, s53                           // 000000010D58: D1ED0093 00D7399D
	v_perm_b32 v147, v158, v147, s54                           // 000000010D60: D1ED0093 00DB279E
	v_perm_b32 v147, v159, v147, s55                           // 000000010D68: D1ED0093 00DF279F
	ds_write_b32 v13, v144 offset:29184                        // 000000010D70: D81A7200 0000900D
	ds_write_b32 v13, v145 offset:30208                        // 000000010D78: D81A7600 0000910D
	ds_write_b32 v13, v146 offset:31232                        // 000000010D80: D81A7A00 0000920D
	ds_write_b32 v13, v147 offset:32256                        // 000000010D88: D81A7E00 0000930D
	v_add_f32_e32 v232, v232, v200                             // 000000010D90: 03D191E8
	v_add_f32_e32 v233, v233, v201                             // 000000010D94: 03D393E9
	v_add_f32_e32 v234, v234, v202                             // 000000010D98: 03D595EA
	v_add_f32_e32 v235, v235, v203                             // 000000010D9C: 03D797EB
	v_add_f32_e32 v236, v236, v204                             // 000000010DA0: 03D999EC
	v_add_f32_e32 v237, v237, v205                             // 000000010DA4: 03DB9BED
	v_add_f32_e32 v238, v238, v206                             // 000000010DA8: 03DD9DEE
	v_add_f32_e32 v239, v239, v207                             // 000000010DAC: 03DF9FEF
	v_rcp_f32_e32 v59, v62                                     // 000000010DB0: 7E76453E
	s_waitcnt lgkmcnt(0)                                       // 000000010DB4: BF8CC07F
	s_barrier                                                  // 000000010DB8: BF8A0000
	ds_read_b64 v[144:145], v12 offset:29184                   // 000000010DBC: D8EC7200 9000000C
	ds_read_b64 v[146:147], v12 offset:29312                   // 000000010DC4: D8EC7280 9200000C
	ds_read_b64 v[148:149], v12 offset:30208                   // 000000010DCC: D8EC7600 9400000C
	ds_read_b64 v[150:151], v12 offset:30336                   // 000000010DD4: D8EC7680 9600000C
	ds_read_b64 v[152:153], v12 offset:31232                   // 000000010DDC: D8EC7A00 9800000C
	ds_read_b64 v[154:155], v12 offset:31360                   // 000000010DE4: D8EC7A80 9A00000C
	ds_read_b64 v[156:157], v12 offset:32256                   // 000000010DEC: D8EC7E00 9C00000C
	ds_read_b64 v[158:159], v12 offset:32384                   // 000000010DF4: D8EC7E80 9E00000C
	s_waitcnt vmcnt(15)                                        // 000000010DFC: BF8C0F7F
	v_mfma_i32_16x16x32_i8 v[192:195], a[96:97], v[128:129], 0 // 000000010E00: D3D700C0 0A030160
	buffer_load_dwordx4 a[80:83], v33, s[20:23], 0 offen offset:1024// 000000010E08: E05C1400 80855021
	v_mfma_i32_16x16x32_i8 v[192:195], a[98:99], v[130:131], v[192:195]// 000000010E10: D3D700C0 0F030562
	v_mfma_i32_16x16x32_i8 v[192:195], a[100:101], v[132:133], v[192:195]// 000000010E18: D3D700C0 0F030964
	v_mfma_i32_16x16x32_i8 v[192:195], a[102:103], v[134:135], v[192:195]// 000000010E20: D3D700C0 0F030D66
	v_mfma_i32_16x16x32_i8 v[192:195], a[104:105], v[136:137], v[192:195]// 000000010E28: D3D700C0 0F031168
	buffer_load_dwordx4 a[84:87], v34, s[20:23], 0 offen offset:1024// 000000010E30: E05C1400 80855422
	v_mfma_i32_16x16x32_i8 v[192:195], a[106:107], v[138:139], v[192:195]// 000000010E38: D3D700C0 0F03156A
	v_mfma_i32_16x16x32_i8 v[192:195], a[108:109], v[140:141], v[192:195]// 000000010E40: D3D700C0 0F03196C
	v_mfma_i32_16x16x32_i8 v[192:195], a[110:111], v[142:143], v[192:195]// 000000010E48: D3D700C0 0F031D6E
	v_mfma_i32_16x16x32_i8 v[196:199], a[112:113], v[128:129], 0// 000000010E50: D3D700C4 0A030170
	buffer_load_dwordx4 a[88:91], v35, s[20:23], 0 offen offset:1024// 000000010E58: E05C1400 80855823
	v_mfma_i32_16x16x32_i8 v[196:199], a[114:115], v[130:131], v[196:199]// 000000010E60: D3D700C4 0F130572
	v_mfma_i32_16x16x32_i8 v[196:199], a[116:117], v[132:133], v[196:199]// 000000010E68: D3D700C4 0F130974
	v_mfma_i32_16x16x32_i8 v[196:199], a[118:119], v[134:135], v[196:199]// 000000010E70: D3D700C4 0F130D76
	v_mfma_i32_16x16x32_i8 v[196:199], a[120:121], v[136:137], v[196:199]// 000000010E78: D3D700C4 0F131178
	buffer_load_dwordx4 a[92:95], v36, s[20:23], 0 offen offset:1024// 000000010E80: E05C1400 80855C24
	v_mfma_i32_16x16x32_i8 v[196:199], a[122:123], v[138:139], v[196:199]// 000000010E88: D3D700C4 0F13157A
	v_mfma_i32_16x16x32_i8 v[196:199], a[124:125], v[140:141], v[196:199]// 000000010E90: D3D700C4 0F13197C
	s_lshr_b32 s57, s70, 4                                     // 000000010E98: 8F398446
	s_add_u32 s57, 48, s57                                     // 000000010E9C: 803939B0
	v_mfma_i32_16x16x32_i8 v[196:199], a[126:127], v[142:143], v[196:199]// 000000010EA0: D3D700C4 0F131D7E
	s_cmp_ge_u32 s57, s73                                      // 000000010EA8: BF094939
	s_cselect_b32 s56, 0, s56                                  // 000000010EAC: 85383880
	v_mfma_i32_16x16x32_i8 v[200:203], a[96:97], v[144:145], 0 // 000000010EB0: D3D700C8 0A032160
	v_mfma_i32_16x16x32_i8 v[200:203], a[98:99], v[146:147], v[200:203]// 000000010EB8: D3D700C8 0F232562
	v_mfma_i32_16x16x32_i8 v[200:203], a[100:101], v[148:149], v[200:203]// 000000010EC0: D3D700C8 0F232964
	v_mfma_i32_16x16x32_i8 v[200:203], a[102:103], v[150:151], v[200:203]// 000000010EC8: D3D700C8 0F232D66
	v_mfma_i32_16x16x32_i8 v[200:203], a[104:105], v[152:153], v[200:203]// 000000010ED0: D3D700C8 0F233168
	v_mfma_i32_16x16x32_i8 v[200:203], a[106:107], v[154:155], v[200:203]// 000000010ED8: D3D700C8 0F23356A
	v_mfma_i32_16x16x32_i8 v[200:203], a[108:109], v[156:157], v[200:203]// 000000010EE0: D3D700C8 0F23396C
	v_mfma_i32_16x16x32_i8 v[200:203], a[110:111], v[158:159], v[200:203]// 000000010EE8: D3D700C8 0F233D6E
	v_mfma_i32_16x16x32_i8 v[204:207], a[112:113], v[144:145], 0// 000000010EF0: D3D700CC 0A032170
	v_mfma_i32_16x16x32_i8 v[204:207], a[114:115], v[146:147], v[204:207]// 000000010EF8: D3D700CC 0F332572
	v_mfma_i32_16x16x32_i8 v[204:207], a[116:117], v[148:149], v[204:207]// 000000010F00: D3D700CC 0F332974
	v_mfma_i32_16x16x32_i8 v[204:207], a[118:119], v[150:151], v[204:207]// 000000010F08: D3D700CC 0F332D76
	v_mfma_i32_16x16x32_i8 v[204:207], a[120:121], v[152:153], v[204:207]// 000000010F10: D3D700CC 0F333178
	v_mfma_i32_16x16x32_i8 v[204:207], a[122:123], v[154:155], v[204:207]// 000000010F18: D3D700CC 0F33357A
	v_mfma_i32_16x16x32_i8 v[204:207], a[124:125], v[156:157], v[204:207]// 000000010F20: D3D700CC 0F33397C
	v_mfma_i32_16x16x32_i8 v[204:207], a[126:127], v[158:159], v[204:207]// 000000010F28: D3D700CC 0F333D7E
	v_add_u32_e32 v1, s56, v1                                  // 000000010F30: 68020238
	s_addk_i32 s70, 0x100                                      // 000000010F34: B7460100
	s_cmp_lt_i32 s70, s71                                      // 000000010F38: BF044746
	s_cbranch_scc0 label_303B                                  // 000000010F3C: BF84F4EB
	s_branch label_303E                                        // 000000010F40: BF82F4ED

0000000000010f44 <label_3B51>:
	s_lshr_b32 s60, s71, 4                                     // 000000010F44: 8F3C8447
	s_cmp_eq_i32 s60, s73                                      // 000000010F48: BF00493C
	s_cbranch_scc1 label_47A2                                  // 000000010F4C: BF850C4E
	s_lshr_b32 s60, s71, 8                                     // 000000010F50: 8F3C8847
	s_and_b32 s60, s60, 1                                      // 000000010F54: 863C813C
	s_cmp_eq_i32 s60, 1                                        // 000000010F58: BF00813C
	s_cbranch_scc1 label_417D                                  // 000000010F5C: BF850625
	s_waitcnt vmcnt(8) lgkmcnt(0)                              // 000000010F60: BF8C0078
	s_barrier                                                  // 000000010F64: BF8A0000
	v_mfma_i32_16x16x32_i8 v[128:131], a[0:1], v[96:97], 0     // 000000010F68: D3D70080 0A02C100
	v_mfma_i32_16x16x32_i8 v[128:131], a[2:3], v[98:99], v[128:131]// 000000010F70: D3D70080 0E02C502
	v_mfma_i32_16x16x32_i8 v[128:131], a[4:5], v[100:101], v[128:131]// 000000010F78: D3D70080 0E02C904
	v_mfma_i32_16x16x32_i8 v[128:131], a[6:7], v[102:103], v[128:131]// 000000010F80: D3D70080 0E02CD06
	v_mfma_i32_16x16x32_i8 v[132:135], a[8:9], v[96:97], 0     // 000000010F88: D3D70084 0A02C108
	v_mfma_i32_16x16x32_i8 v[132:135], a[10:11], v[98:99], v[132:135]// 000000010F90: D3D70084 0E12C50A
	v_mfma_i32_16x16x32_i8 v[132:135], a[12:13], v[100:101], v[132:135]// 000000010F98: D3D70084 0E12C90C
	v_mfma_i32_16x16x32_i8 v[132:135], a[14:15], v[102:103], v[132:135]// 000000010FA0: D3D70084 0E12CD0E
	v_mfma_i32_16x16x32_i8 v[136:139], a[16:17], v[96:97], 0   // 000000010FA8: D3D70088 0A02C110
	v_mfma_i32_16x16x32_i8 v[136:139], a[18:19], v[98:99], v[136:139]// 000000010FB0: D3D70088 0E22C512
	v_mfma_i32_16x16x32_i8 v[136:139], a[20:21], v[100:101], v[136:139]// 000000010FB8: D3D70088 0E22C914
	v_mfma_i32_16x16x32_i8 v[136:139], a[22:23], v[102:103], v[136:139]// 000000010FC0: D3D70088 0E22CD16
	v_mfma_i32_16x16x32_i8 v[140:143], a[24:25], v[96:97], 0   // 000000010FC8: D3D7008C 0A02C118
	v_mfma_i32_16x16x32_i8 v[140:143], a[26:27], v[98:99], v[140:143]// 000000010FD0: D3D7008C 0E32C51A
	v_mfma_i32_16x16x32_i8 v[140:143], a[28:29], v[100:101], v[140:143]// 000000010FD8: D3D7008C 0E32C91C
	v_mfma_i32_16x16x32_i8 v[140:143], a[30:31], v[102:103], v[140:143]// 000000010FE0: D3D7008C 0E32CD1E
	v_mfma_i32_16x16x32_i8 v[144:147], a[0:1], v[104:105], 0   // 000000010FE8: D3D70090 0A02D100
	v_mfma_i32_16x16x32_i8 v[144:147], a[2:3], v[106:107], v[144:147]// 000000010FF0: D3D70090 0E42D502
	v_mfma_i32_16x16x32_i8 v[144:147], a[4:5], v[108:109], v[144:147]// 000000010FF8: D3D70090 0E42D904
	v_mfma_i32_16x16x32_i8 v[144:147], a[6:7], v[110:111], v[144:147]// 000000011000: D3D70090 0E42DD06
	v_mfma_i32_16x16x32_i8 v[148:151], a[8:9], v[104:105], 0   // 000000011008: D3D70094 0A02D108
	v_mfma_i32_16x16x32_i8 v[148:151], a[10:11], v[106:107], v[148:151]// 000000011010: D3D70094 0E52D50A
	v_mfma_i32_16x16x32_i8 v[148:151], a[12:13], v[108:109], v[148:151]// 000000011018: D3D70094 0E52D90C
	v_mfma_i32_16x16x32_i8 v[148:151], a[14:15], v[110:111], v[148:151]// 000000011020: D3D70094 0E52DD0E
	v_mfma_i32_16x16x32_i8 v[152:155], a[16:17], v[104:105], 0 // 000000011028: D3D70098 0A02D110
	v_mfma_i32_16x16x32_i8 v[152:155], a[18:19], v[106:107], v[152:155]// 000000011030: D3D70098 0E62D512
	v_mfma_i32_16x16x32_i8 v[152:155], a[20:21], v[108:109], v[152:155]// 000000011038: D3D70098 0E62D914
	v_mfma_i32_16x16x32_i8 v[152:155], a[22:23], v[110:111], v[152:155]// 000000011040: D3D70098 0E62DD16
	v_mfma_i32_16x16x32_i8 v[156:159], a[24:25], v[104:105], 0 // 000000011048: D3D7009C 0A02D118
	v_mfma_i32_16x16x32_i8 v[156:159], a[26:27], v[106:107], v[156:159]// 000000011050: D3D7009C 0E72D51A
	v_mfma_i32_16x16x32_i8 v[156:159], a[28:29], v[108:109], v[156:159]// 000000011058: D3D7009C 0E72D91C
	v_mfma_i32_16x16x32_i8 v[156:159], a[30:31], v[110:111], v[156:159]// 000000011060: D3D7009C 0E72DD1E
	v_mov_b32_dpp v41, v52 row_shr:4 row_mask:0xf bank_mask:0xf// 000000011068: 7E5202FA FF011434
	v_mov_b32_dpp v42, v52 row_shl:4 row_mask:0xf bank_mask:0xf// 000000011070: 7E5402FA FF010434
	v_cndmask_b32_e64 v248, v52, v41, s[44:45]                 // 000000011078: D10000F8 00B25334
	v_cndmask_b32_e64 v249, v42, v52, s[44:45]                 // 000000011080: D10000F9 00B2692A
	v_mov_b32_dpp v41, v248 row_shr:8 row_mask:0xf bank_mask:0xf// 000000011088: 7E5202FA FF0118F8
	v_mov_b32_dpp v42, v248 row_shl:8 row_mask:0xf bank_mask:0xf// 000000011090: 7E5402FA FF0108F8
	v_mov_b32_dpp v43, v249 row_shr:8 row_mask:0xf bank_mask:0xf// 000000011098: 7E5602FA FF0118F9
	v_mov_b32_dpp v44, v249 row_shl:8 row_mask:0xf bank_mask:0xf// 0000000110A0: 7E5802FA FF0108F9
	v_mov_b32_e32 v45, v248                                    // 0000000110A8: 7E5A03F8
	v_mov_b32_e32 v46, v249                                    // 0000000110AC: 7E5C03F9
	v_cndmask_b32_e64 v248, v45, v41, s[42:43]                 // 0000000110B0: D10000F8 00AA532D
	v_cndmask_b32_e64 v250, v45, v42, s[78:79]                 // 0000000110B8: D10000FA 013A552D
	v_cndmask_b32_e64 v249, v46, v43, s[42:43]                 // 0000000110C0: D10000F9 00AA572E
	v_cndmask_b32_e64 v251, v46, v44, s[78:79]                 // 0000000110C8: D10000FB 013A592E
	v_mov_b32_dpp v41, v72 row_shr:4 row_mask:0xf bank_mask:0xf// 0000000110D0: 7E5202FA FF011448
	v_mov_b32_dpp v42, v72 row_shl:4 row_mask:0xf bank_mask:0xf// 0000000110D8: 7E5402FA FF010448
	v_cndmask_b32_e64 v252, v72, v41, s[44:45]                 // 0000000110E0: D10000FC 00B25348
	v_cndmask_b32_e64 v253, v42, v72, s[44:45]                 // 0000000110E8: D10000FD 00B2912A
	v_mov_b32_dpp v41, v252 row_shr:8 row_mask:0xf bank_mask:0xf// 0000000110F0: 7E5202FA FF0118FC
	v_mov_b32_dpp v42, v252 row_shl:8 row_mask:0xf bank_mask:0xf// 0000000110F8: 7E5402FA FF0108FC
	v_mov_b32_dpp v43, v253 row_shr:8 row_mask:0xf bank_mask:0xf// 000000011100: 7E5602FA FF0118FD
	v_mov_b32_dpp v44, v253 row_shl:8 row_mask:0xf bank_mask:0xf// 000000011108: 7E5802FA FF0108FD
	v_mov_b32_e32 v45, v252                                    // 000000011110: 7E5A03FC
	v_mov_b32_e32 v46, v253                                    // 000000011114: 7E5C03FD
	v_cndmask_b32_e64 v252, v45, v41, s[42:43]                 // 000000011118: D10000FC 00AA532D
	v_cndmask_b32_e64 v254, v45, v42, s[78:79]                 // 000000011120: D10000FE 013A552D
	v_cndmask_b32_e64 v253, v46, v43, s[42:43]                 // 000000011128: D10000FD 00AA572E
	v_cndmask_b32_e64 v255, v46, v44, s[78:79]                 // 000000011130: D10000FF 013A592E
	v_cvt_f32_i32_e32 v128, v128                               // 000000011138: 7F000B80
	v_cvt_f32_i32_e32 v129, v129                               // 00000001113C: 7F020B81
	v_cvt_f32_i32_e32 v130, v130                               // 000000011140: 7F040B82
	v_cvt_f32_i32_e32 v131, v131                               // 000000011144: 7F060B83
	v_cvt_f32_i32_e32 v132, v132                               // 000000011148: 7F080B84
	v_cvt_f32_i32_e32 v133, v133                               // 00000001114C: 7F0A0B85
	v_cvt_f32_i32_e32 v134, v134                               // 000000011150: 7F0C0B86
	v_cvt_f32_i32_e32 v135, v135                               // 000000011154: 7F0E0B87
	v_cvt_f32_i32_e32 v136, v136                               // 000000011158: 7F100B88
	v_cvt_f32_i32_e32 v137, v137                               // 00000001115C: 7F120B89
	v_cvt_f32_i32_e32 v138, v138                               // 000000011160: 7F140B8A
	v_cvt_f32_i32_e32 v139, v139                               // 000000011164: 7F160B8B
	v_cvt_f32_i32_e32 v140, v140                               // 000000011168: 7F180B8C
	v_cvt_f32_i32_e32 v141, v141                               // 00000001116C: 7F1A0B8D
	v_cvt_f32_i32_e32 v142, v142                               // 000000011170: 7F1C0B8E
	v_cvt_f32_i32_e32 v143, v143                               // 000000011174: 7F1E0B8F
	v_mul_f32_e32 v128, v54, v128                              // 000000011178: 0B010136
	v_mul_f32_e32 v129, v54, v129                              // 00000001117C: 0B030336
	v_mul_f32_e32 v130, v54, v130                              // 000000011180: 0B050536
	v_mul_f32_e32 v131, v54, v131                              // 000000011184: 0B070736
	v_mul_f32_e32 v132, v54, v132                              // 000000011188: 0B090936
	v_mul_f32_e32 v133, v54, v133                              // 00000001118C: 0B0B0B36
	v_mul_f32_e32 v134, v54, v134                              // 000000011190: 0B0D0D36
	v_mul_f32_e32 v135, v54, v135                              // 000000011194: 0B0F0F36
	v_mul_f32_e32 v136, v54, v136                              // 000000011198: 0B111136
	v_mul_f32_e32 v137, v54, v137                              // 00000001119C: 0B131336
	v_mul_f32_e32 v138, v54, v138                              // 0000000111A0: 0B151536
	v_mul_f32_e32 v139, v54, v139                              // 0000000111A4: 0B171736
	v_mul_f32_e32 v140, v54, v140                              // 0000000111A8: 0B191936
	v_mul_f32_e32 v141, v54, v141                              // 0000000111AC: 0B1B1B36
	v_mul_f32_e32 v142, v54, v142                              // 0000000111B0: 0B1D1D36
	v_mul_f32_e32 v143, v54, v143                              // 0000000111B4: 0B1F1F36
	v_mul_f32_dpp v128, v248, v128 quad_perm:[0,0,0,0] row_mask:0xf bank_mask:0xf// 0000000111B8: 0B0100FA FF0000F8
	v_mul_f32_dpp v129, v248, v129 quad_perm:[1,1,1,1] row_mask:0xf bank_mask:0xf// 0000000111C0: 0B0302FA FF0055F8
	v_mul_f32_dpp v130, v248, v130 quad_perm:[2,2,2,2] row_mask:0xf bank_mask:0xf// 0000000111C8: 0B0504FA FF00AAF8
	v_mul_f32_dpp v131, v248, v131 quad_perm:[3,3,3,3] row_mask:0xf bank_mask:0xf// 0000000111D0: 0B0706FA FF00FFF8
	v_mul_f32_dpp v132, v249, v132 quad_perm:[0,0,0,0] row_mask:0xf bank_mask:0xf// 0000000111D8: 0B0908FA FF0000F9
	v_mul_f32_dpp v133, v249, v133 quad_perm:[1,1,1,1] row_mask:0xf bank_mask:0xf// 0000000111E0: 0B0B0AFA FF0055F9
	v_mul_f32_dpp v134, v249, v134 quad_perm:[2,2,2,2] row_mask:0xf bank_mask:0xf// 0000000111E8: 0B0D0CFA FF00AAF9
	v_mul_f32_dpp v135, v249, v135 quad_perm:[3,3,3,3] row_mask:0xf bank_mask:0xf// 0000000111F0: 0B0F0EFA FF00FFF9
	v_mul_f32_dpp v136, v250, v136 quad_perm:[0,0,0,0] row_mask:0xf bank_mask:0xf// 0000000111F8: 0B1110FA FF0000FA
	v_mul_f32_dpp v137, v250, v137 quad_perm:[1,1,1,1] row_mask:0xf bank_mask:0xf// 000000011200: 0B1312FA FF0055FA
	v_mul_f32_dpp v138, v250, v138 quad_perm:[2,2,2,2] row_mask:0xf bank_mask:0xf// 000000011208: 0B1514FA FF00AAFA
	v_mul_f32_dpp v139, v250, v139 quad_perm:[3,3,3,3] row_mask:0xf bank_mask:0xf// 000000011210: 0B1716FA FF00FFFA
	v_mul_f32_dpp v140, v251, v140 quad_perm:[0,0,0,0] row_mask:0xf bank_mask:0xf// 000000011218: 0B1918FA FF0000FB
	v_mul_f32_dpp v141, v251, v141 quad_perm:[1,1,1,1] row_mask:0xf bank_mask:0xf// 000000011220: 0B1B1AFA FF0055FB
	v_mul_f32_dpp v142, v251, v142 quad_perm:[2,2,2,2] row_mask:0xf bank_mask:0xf// 000000011228: 0B1D1CFA FF00AAFB
	v_mul_f32_dpp v143, v251, v143 quad_perm:[3,3,3,3] row_mask:0xf bank_mask:0xf// 000000011230: 0B1F1EFA FF00FFFB
	s_cmp_le_i32 s90, s89                                      // 000000011238: BF05595A
	s_cbranch_scc1 label_3C83                                  // 00000001123C: BF850073
	v_mov_b32_e32 v69, 0xff800000                              // 000000011240: 7E8A02FF FF800000
	s_mov_b32 s60, s90                                         // 000000011248: BEBC005A
	s_add_u32 s61, s89, 0xff                                   // 00000001124C: 803DFF59 000000FF
	v_mov_b32_e32 v41, s61                                     // 000000011254: 7E52023D
	v_lshrrev_b32_e32 v240, 4, v0                              // 000000011258: 21E00084
	v_mul_i32_i24_e32 v240, 4, v240                            // 00000001125C: 0DE1E084
	v_add_u32_e32 v240, s60, v240                              // 000000011260: 69E1E03C
	v_and_b32_e32 v42, 15, v0                                  // 000000011264: 2654008F
	v_lshrrev_b32_e32 v42, 3, v42                              // 000000011268: 20545483
	s_mov_b32 s61, 0                                           // 00000001126C: BEBD0080
	s_mul_i32 s60, 16, s7                                      // 000000011270: 923C0790
	v_add_u32_e32 v42, s61, v42                                // 000000011274: 6854543D
	v_sub_u32_e32 v240, v240, v42                              // 000000011278: 6BE055F0
	v_add_u32_e32 v240, s60, v240                              // 00000001127C: 69E1E03C
	v_add_u32_e32 v241, 1, v240                                // 000000011280: 69E3E081
	v_add_u32_e32 v242, 2, v240                                // 000000011284: 69E5E082
	v_add_u32_e32 v243, 3, v240                                // 000000011288: 69E7E083
	v_cmp_le_u32_e64 s[40:41], v240, v41                       // 00000001128C: D0CB0028 000253F0
	v_add_u32_e32 v240, 64, v240                               // 000000011294: 69E1E0C0
	s_nop 0                                                    // 000000011298: BF800000
	v_cndmask_b32_e64 v128, v69, v128, s[40:41]                // 00000001129C: D1000080 00A30145
	v_cmp_le_u32_e64 s[40:41], v241, v41                       // 0000000112A4: D0CB0028 000253F1
	v_add_u32_e32 v241, 64, v241                               // 0000000112AC: 69E3E2C0
	s_nop 0                                                    // 0000000112B0: BF800000
	v_cndmask_b32_e64 v129, v69, v129, s[40:41]                // 0000000112B4: D1000081 00A30345
	v_cmp_le_u32_e64 s[40:41], v242, v41                       // 0000000112BC: D0CB0028 000253F2
	v_add_u32_e32 v242, 64, v242                               // 0000000112C4: 69E5E4C0
	s_nop 0                                                    // 0000000112C8: BF800000
	v_cndmask_b32_e64 v130, v69, v130, s[40:41]                // 0000000112CC: D1000082 00A30545
	v_cmp_le_u32_e64 s[40:41], v243, v41                       // 0000000112D4: D0CB0028 000253F3
	v_add_u32_e32 v243, 64, v243                               // 0000000112DC: 69E7E6C0
	s_nop 0                                                    // 0000000112E0: BF800000
	v_cndmask_b32_e64 v131, v69, v131, s[40:41]                // 0000000112E4: D1000083 00A30745
	v_cmp_le_u32_e64 s[40:41], v240, v41                       // 0000000112EC: D0CB0028 000253F0
	v_add_u32_e32 v240, 64, v240                               // 0000000112F4: 69E1E0C0
	s_nop 0                                                    // 0000000112F8: BF800000
	v_cndmask_b32_e64 v132, v69, v132, s[40:41]                // 0000000112FC: D1000084 00A30945
	v_cmp_le_u32_e64 s[40:41], v241, v41                       // 000000011304: D0CB0028 000253F1
	v_add_u32_e32 v241, 64, v241                               // 00000001130C: 69E3E2C0
	s_nop 0                                                    // 000000011310: BF800000
	v_cndmask_b32_e64 v133, v69, v133, s[40:41]                // 000000011314: D1000085 00A30B45
	v_cmp_le_u32_e64 s[40:41], v242, v41                       // 00000001131C: D0CB0028 000253F2
	v_add_u32_e32 v242, 64, v242                               // 000000011324: 69E5E4C0
	s_nop 0                                                    // 000000011328: BF800000
	v_cndmask_b32_e64 v134, v69, v134, s[40:41]                // 00000001132C: D1000086 00A30D45
	v_cmp_le_u32_e64 s[40:41], v243, v41                       // 000000011334: D0CB0028 000253F3
	v_add_u32_e32 v243, 64, v243                               // 00000001133C: 69E7E6C0
	s_nop 0                                                    // 000000011340: BF800000
	v_cndmask_b32_e64 v135, v69, v135, s[40:41]                // 000000011344: D1000087 00A30F45
	v_cmp_le_u32_e64 s[40:41], v240, v41                       // 00000001134C: D0CB0028 000253F0
	v_add_u32_e32 v240, 64, v240                               // 000000011354: 69E1E0C0
	s_nop 0                                                    // 000000011358: BF800000
	v_cndmask_b32_e64 v136, v69, v136, s[40:41]                // 00000001135C: D1000088 00A31145
	v_cmp_le_u32_e64 s[40:41], v241, v41                       // 000000011364: D0CB0028 000253F1
	v_add_u32_e32 v241, 64, v241                               // 00000001136C: 69E3E2C0
	s_nop 0                                                    // 000000011370: BF800000
	v_cndmask_b32_e64 v137, v69, v137, s[40:41]                // 000000011374: D1000089 00A31345
	v_cmp_le_u32_e64 s[40:41], v242, v41                       // 00000001137C: D0CB0028 000253F2
	v_add_u32_e32 v242, 64, v242                               // 000000011384: 69E5E4C0
	s_nop 0                                                    // 000000011388: BF800000
	v_cndmask_b32_e64 v138, v69, v138, s[40:41]                // 00000001138C: D100008A 00A31545
	v_cmp_le_u32_e64 s[40:41], v243, v41                       // 000000011394: D0CB0028 000253F3
	v_add_u32_e32 v243, 64, v243                               // 00000001139C: 69E7E6C0
	s_nop 0                                                    // 0000000113A0: BF800000
	v_cndmask_b32_e64 v139, v69, v139, s[40:41]                // 0000000113A4: D100008B 00A31745
	v_cmp_le_u32_e64 s[40:41], v240, v41                       // 0000000113AC: D0CB0028 000253F0
	v_add_u32_e32 v240, 64, v240                               // 0000000113B4: 69E1E0C0
	s_nop 0                                                    // 0000000113B8: BF800000
	v_cndmask_b32_e64 v140, v69, v140, s[40:41]                // 0000000113BC: D100008C 00A31945
	v_cmp_le_u32_e64 s[40:41], v241, v41                       // 0000000113C4: D0CB0028 000253F1
	v_add_u32_e32 v241, 64, v241                               // 0000000113CC: 69E3E2C0
	s_nop 0                                                    // 0000000113D0: BF800000
	v_cndmask_b32_e64 v141, v69, v141, s[40:41]                // 0000000113D4: D100008D 00A31B45
	v_cmp_le_u32_e64 s[40:41], v242, v41                       // 0000000113DC: D0CB0028 000253F2
	v_add_u32_e32 v242, 64, v242                               // 0000000113E4: 69E5E4C0
	s_nop 0                                                    // 0000000113E8: BF800000
	v_cndmask_b32_e64 v142, v69, v142, s[40:41]                // 0000000113EC: D100008E 00A31D45
	v_cmp_le_u32_e64 s[40:41], v243, v41                       // 0000000113F4: D0CB0028 000253F3
	v_add_u32_e32 v243, 64, v243                               // 0000000113FC: 69E7E6C0
	s_nop 0                                                    // 000000011400: BF800000
	v_cndmask_b32_e64 v143, v69, v143, s[40:41]                // 000000011404: D100008F 00A31F45

000000000001140c <label_3C83>:
	s_and_b32 s60, s72, 0xff                                   // 00000001140C: 863CFF48 000000FF
	v_mov_b32_e32 v42, s60                                     // 000000011414: 7E54023C
	v_lshrrev_b32_e32 v240, 4, v0                              // 000000011418: 21E00084
	v_mul_i32_i24_e32 v240, 4, v240                            // 00000001141C: 0DE1E084
	s_mul_i32 s60, s7, 16                                      // 000000011420: 923C9007
	v_add_u32_e32 v240, s60, v240                              // 000000011424: 69E1E03C
	v_add_u32_e32 v241, 1, v240                                // 000000011428: 69E3E081
	v_add_u32_e32 v242, 2, v240                                // 00000001142C: 69E5E082
	v_add_u32_e32 v243, 3, v240                                // 000000011430: 69E7E083
	v_mov_b32_e32 v41, 0xff800000                              // 000000011434: 7E5202FF FF800000
	v_cmp_lt_u32_e64 s[40:41], v240, v42                       // 00000001143C: D0C90028 000255F0
	v_add_u32_e32 v240, 64, v240                               // 000000011444: 69E1E0C0
	s_nop 0                                                    // 000000011448: BF800000
	v_cndmask_b32_e64 v128, v41, v128, s[40:41]                // 00000001144C: D1000080 00A30129
	v_cmp_lt_u32_e64 s[40:41], v241, v42                       // 000000011454: D0C90028 000255F1
	v_add_u32_e32 v241, 64, v241                               // 00000001145C: 69E3E2C0
	s_nop 0                                                    // 000000011460: BF800000
	v_cndmask_b32_e64 v129, v41, v129, s[40:41]                // 000000011464: D1000081 00A30329
	v_cmp_lt_u32_e64 s[40:41], v242, v42                       // 00000001146C: D0C90028 000255F2
	v_add_u32_e32 v242, 64, v242                               // 000000011474: 69E5E4C0
	s_nop 0                                                    // 000000011478: BF800000
	v_cndmask_b32_e64 v130, v41, v130, s[40:41]                // 00000001147C: D1000082 00A30529
	v_cmp_lt_u32_e64 s[40:41], v243, v42                       // 000000011484: D0C90028 000255F3
	v_add_u32_e32 v243, 64, v243                               // 00000001148C: 69E7E6C0
	s_nop 0                                                    // 000000011490: BF800000
	v_cndmask_b32_e64 v131, v41, v131, s[40:41]                // 000000011494: D1000083 00A30729
	v_cmp_lt_u32_e64 s[40:41], v240, v42                       // 00000001149C: D0C90028 000255F0
	v_add_u32_e32 v240, 64, v240                               // 0000000114A4: 69E1E0C0
	s_nop 0                                                    // 0000000114A8: BF800000
	v_cndmask_b32_e64 v132, v41, v132, s[40:41]                // 0000000114AC: D1000084 00A30929
	v_cmp_lt_u32_e64 s[40:41], v241, v42                       // 0000000114B4: D0C90028 000255F1
	v_add_u32_e32 v241, 64, v241                               // 0000000114BC: 69E3E2C0
	s_nop 0                                                    // 0000000114C0: BF800000
	v_cndmask_b32_e64 v133, v41, v133, s[40:41]                // 0000000114C4: D1000085 00A30B29
	v_cmp_lt_u32_e64 s[40:41], v242, v42                       // 0000000114CC: D0C90028 000255F2
	v_add_u32_e32 v242, 64, v242                               // 0000000114D4: 69E5E4C0
	s_nop 0                                                    // 0000000114D8: BF800000
	v_cndmask_b32_e64 v134, v41, v134, s[40:41]                // 0000000114DC: D1000086 00A30D29
	v_cmp_lt_u32_e64 s[40:41], v243, v42                       // 0000000114E4: D0C90028 000255F3
	v_add_u32_e32 v243, 64, v243                               // 0000000114EC: 69E7E6C0
	s_nop 0                                                    // 0000000114F0: BF800000
	v_cndmask_b32_e64 v135, v41, v135, s[40:41]                // 0000000114F4: D1000087 00A30F29
	v_cmp_lt_u32_e64 s[40:41], v240, v42                       // 0000000114FC: D0C90028 000255F0
	v_add_u32_e32 v240, 64, v240                               // 000000011504: 69E1E0C0
	s_nop 0                                                    // 000000011508: BF800000
	v_cndmask_b32_e64 v136, v41, v136, s[40:41]                // 00000001150C: D1000088 00A31129
	v_cmp_lt_u32_e64 s[40:41], v241, v42                       // 000000011514: D0C90028 000255F1
	v_add_u32_e32 v241, 64, v241                               // 00000001151C: 69E3E2C0
	s_nop 0                                                    // 000000011520: BF800000
	v_cndmask_b32_e64 v137, v41, v137, s[40:41]                // 000000011524: D1000089 00A31329
	v_cmp_lt_u32_e64 s[40:41], v242, v42                       // 00000001152C: D0C90028 000255F2
	v_add_u32_e32 v242, 64, v242                               // 000000011534: 69E5E4C0
	s_nop 0                                                    // 000000011538: BF800000
	v_cndmask_b32_e64 v138, v41, v138, s[40:41]                // 00000001153C: D100008A 00A31529
	v_cmp_lt_u32_e64 s[40:41], v243, v42                       // 000000011544: D0C90028 000255F3
	v_add_u32_e32 v243, 64, v243                               // 00000001154C: 69E7E6C0
	s_nop 0                                                    // 000000011550: BF800000
	v_cndmask_b32_e64 v139, v41, v139, s[40:41]                // 000000011554: D100008B 00A31729
	v_cmp_lt_u32_e64 s[40:41], v240, v42                       // 00000001155C: D0C90028 000255F0
	v_add_u32_e32 v240, 64, v240                               // 000000011564: 69E1E0C0
	s_nop 0                                                    // 000000011568: BF800000
	v_cndmask_b32_e64 v140, v41, v140, s[40:41]                // 00000001156C: D100008C 00A31929
	v_cmp_lt_u32_e64 s[40:41], v241, v42                       // 000000011574: D0C90028 000255F1
	v_add_u32_e32 v241, 64, v241                               // 00000001157C: 69E3E2C0
	s_nop 0                                                    // 000000011580: BF800000
	v_cndmask_b32_e64 v141, v41, v141, s[40:41]                // 000000011584: D100008D 00A31B29
	v_cmp_lt_u32_e64 s[40:41], v242, v42                       // 00000001158C: D0C90028 000255F2
	v_add_u32_e32 v242, 64, v242                               // 000000011594: 69E5E4C0
	s_nop 0                                                    // 000000011598: BF800000
	v_cndmask_b32_e64 v142, v41, v142, s[40:41]                // 00000001159C: D100008E 00A31D29
	v_cmp_lt_u32_e64 s[40:41], v243, v42                       // 0000000115A4: D0C90028 000255F3
	v_add_u32_e32 v243, 64, v243                               // 0000000115AC: 69E7E6C0
	s_nop 0                                                    // 0000000115B0: BF800000
	v_cndmask_b32_e64 v143, v41, v143, s[40:41]                // 0000000115B4: D100008F 00A31F29
	v_mov_b32_e32 v62, v128                                    // 0000000115BC: 7E7C0380
	v_max3_f32 v62, v128, v129, v62                            // 0000000115C0: D1D3003E 04FB0380
	v_max3_f32 v62, v130, v131, v62                            // 0000000115C8: D1D3003E 04FB0782
	v_max3_f32 v62, v132, v133, v62                            // 0000000115D0: D1D3003E 04FB0B84
	v_max3_f32 v62, v134, v135, v62                            // 0000000115D8: D1D3003E 04FB0F86
	v_max3_f32 v62, v136, v137, v62                            // 0000000115E0: D1D3003E 04FB1388
	v_max3_f32 v62, v138, v139, v62                            // 0000000115E8: D1D3003E 04FB178A
	v_max3_f32 v62, v140, v141, v62                            // 0000000115F0: D1D3003E 04FB1B8C
	v_max3_f32 v62, v142, v143, v62                            // 0000000115F8: D1D3003E 04FB1F8E
	ds_write_b32 v11, v62 offset:16896                         // 000000011600: D81A4200 00003E0B
	v_mul_u32_u24_dpp v41, v20, v68 row_newbcast:1 row_mask:0xf bank_mask:0xf// 000000011608: 105288FA FF015114
	v_mul_u32_u24_dpp v42, v20, v68 row_newbcast:5 row_mask:0xf bank_mask:0xf// 000000011610: 105488FA FF015514
	v_mul_u32_u24_dpp v43, v20, v68 row_newbcast:9 row_mask:0xf bank_mask:0xf// 000000011618: 105688FA FF015914
	v_mul_u32_u24_dpp v44, v20, v68 row_newbcast:13 row_mask:0xf bank_mask:0xf// 000000011620: 105888FA FF015D14
	v_add_u32_e32 v37, v41, v7                                 // 000000011628: 684A0F29
	v_add_u32_e32 v38, v42, v7                                 // 00000001162C: 684C0F2A
	v_add_u32_e32 v39, v43, v7                                 // 000000011630: 684E0F2B
	v_add_u32_e32 v40, v44, v7                                 // 000000011634: 68500F2C
	v_mul_f32_e32 v224, v63, v224                              // 000000011638: 0BC1C13F
	v_mul_f32_e32 v225, v63, v225                              // 00000001163C: 0BC3C33F
	v_mul_f32_e32 v226, v63, v226                              // 000000011640: 0BC5C53F
	v_mul_f32_e32 v227, v63, v227                              // 000000011644: 0BC7C73F
	v_mul_f32_e32 v228, v63, v228                              // 000000011648: 0BC9C93F
	v_mul_f32_e32 v229, v63, v229                              // 00000001164C: 0BCBCB3F
	v_mul_f32_e32 v230, v63, v230                              // 000000011650: 0BCDCD3F
	v_mul_f32_e32 v231, v63, v231                              // 000000011654: 0BCFCF3F
	s_waitcnt lgkmcnt(0)                                       // 000000011658: BF8CC07F
	s_barrier                                                  // 00000001165C: BF8A0000
	ds_read_b32 v80, v10 offset:16896                          // 000000011660: D86C4200 5000000A
	ds_read_b32 v81, v10 offset:16960                          // 000000011668: D86C4240 5100000A
	ds_read_b32 v82, v10 offset:17024                          // 000000011670: D86C4280 5200000A
	ds_read_b32 v83, v10 offset:17088                          // 000000011678: D86C42C0 5300000A
	ds_read_b32 v84, v10 offset:17152                          // 000000011680: D86C4300 5400000A
	ds_read_b32 v85, v10 offset:17216                          // 000000011688: D86C4340 5500000A
	ds_read_b32 v86, v10 offset:17280                          // 000000011690: D86C4380 5600000A
	ds_read_b32 v87, v10 offset:17344                          // 000000011698: D86C43C0 5700000A
	ds_read_b32 v88, v10 offset:17408                          // 0000000116A0: D86C4400 5800000A
	ds_read_b32 v89, v10 offset:17472                          // 0000000116A8: D86C4440 5900000A
	ds_read_b32 v90, v10 offset:17536                          // 0000000116B0: D86C4480 5A00000A
	ds_read_b32 v91, v10 offset:17600                          // 0000000116B8: D86C44C0 5B00000A
	ds_read_b32 v92, v10 offset:17664                          // 0000000116C0: D86C4500 5C00000A
	ds_read_b32 v93, v10 offset:17728                          // 0000000116C8: D86C4540 5D00000A
	ds_read_b32 v94, v10 offset:17792                          // 0000000116D0: D86C4580 5E00000A
	ds_read_b32 v95, v10 offset:17856                          // 0000000116D8: D86C45C0 5F00000A
	v_cvt_f32_i32_e32 v192, v192                               // 0000000116E0: 7F800BC0
	v_cvt_f32_i32_e32 v193, v193                               // 0000000116E4: 7F820BC1
	v_cvt_f32_i32_e32 v194, v194                               // 0000000116E8: 7F840BC2
	v_cvt_f32_i32_e32 v195, v195                               // 0000000116EC: 7F860BC3
	v_cvt_f32_i32_e32 v196, v196                               // 0000000116F0: 7F880BC4
	v_cvt_f32_i32_e32 v197, v197                               // 0000000116F4: 7F8A0BC5
	v_cvt_f32_i32_e32 v198, v198                               // 0000000116F8: 7F8C0BC6
	v_cvt_f32_i32_e32 v199, v199                               // 0000000116FC: 7F8E0BC7
	v_mul_f32_e32 v192, v58, v192                              // 000000011700: 0B81813A
	v_mul_f32_e32 v193, v58, v193                              // 000000011704: 0B83833A
	v_mul_f32_e32 v194, v58, v194                              // 000000011708: 0B85853A
	v_mul_f32_e32 v195, v58, v195                              // 00000001170C: 0B87873A
	v_mul_f32_e32 v196, v58, v196                              // 000000011710: 0B89893A
	v_mul_f32_e32 v197, v58, v197                              // 000000011714: 0B8B8B3A
	v_mul_f32_e32 v198, v58, v198                              // 000000011718: 0B8D8D3A
	v_mul_f32_e32 v199, v58, v199                              // 00000001171C: 0B8F8F3A
	s_waitcnt lgkmcnt(0)                                       // 000000011720: BF8CC07F
	v_max3_f32 v62, v80, v81, v62                              // 000000011724: D1D3003E 04FAA350
	v_max3_f32 v62, v82, v83, v62                              // 00000001172C: D1D3003E 04FAA752
	v_max3_f32 v62, v84, v85, v62                              // 000000011734: D1D3003E 04FAAB54
	v_max3_f32 v62, v86, v87, v62                              // 00000001173C: D1D3003E 04FAAF56
	v_max3_f32 v62, v88, v89, v62                              // 000000011744: D1D3003E 04FAB358
	v_max3_f32 v62, v90, v91, v62                              // 00000001174C: D1D3003E 04FAB75A
	v_max3_f32 v62, v92, v93, v62                              // 000000011754: D1D3003E 04FABB5C
	v_max3_f32 v62, v94, v95, v62                              // 00000001175C: D1D3003E 04FABF5E
	v_mov_b32_e32 v41, 0xff800000                              // 000000011764: 7E5202FF FF800000
	v_cmp_eq_u32_e64 s[40:41], v41, v14                        // 00000001176C: D0CA0028 00021D29
	s_nop 1                                                    // 000000011774: BF800001
	v_max_f32_e32 v18, v62, v14                                // 000000011778: 16241D3E
	v_mul_f32_e32 v67, s64, v18                                // 00000001177C: 0A862440
	v_fma_f32 v128, v128, s64, -v67                            // 000000011780: D1CB0080 850C8180
	v_fma_f32 v129, v129, s64, -v67                            // 000000011788: D1CB0081 850C8181
	v_fma_f32 v130, v130, s64, -v67                            // 000000011790: D1CB0082 850C8182
	v_fma_f32 v131, v131, s64, -v67                            // 000000011798: D1CB0083 850C8183
	v_fma_f32 v132, v132, s64, -v67                            // 0000000117A0: D1CB0084 850C8184
	v_fma_f32 v133, v133, s64, -v67                            // 0000000117A8: D1CB0085 850C8185
	v_fma_f32 v134, v134, s64, -v67                            // 0000000117B0: D1CB0086 850C8186
	v_fma_f32 v135, v135, s64, -v67                            // 0000000117B8: D1CB0087 850C8187
	v_fma_f32 v136, v136, s64, -v67                            // 0000000117C0: D1CB0088 850C8188
	v_fma_f32 v137, v137, s64, -v67                            // 0000000117C8: D1CB0089 850C8189
	v_fma_f32 v138, v138, s64, -v67                            // 0000000117D0: D1CB008A 850C818A
	v_fma_f32 v139, v139, s64, -v67                            // 0000000117D8: D1CB008B 850C818B
	v_fma_f32 v140, v140, s64, -v67                            // 0000000117E0: D1CB008C 850C818C
	v_fma_f32 v141, v141, s64, -v67                            // 0000000117E8: D1CB008D 850C818D
	v_fma_f32 v142, v142, s64, -v67                            // 0000000117F0: D1CB008E 850C818E
	v_fma_f32 v143, v143, s64, -v67                            // 0000000117F8: D1CB008F 850C818F
	v_exp_f32_e32 v128, v128                                   // 000000011800: 7F004180
	v_exp_f32_e32 v129, v129                                   // 000000011804: 7F024181
	v_exp_f32_e32 v130, v130                                   // 000000011808: 7F044182
	v_exp_f32_e32 v131, v131                                   // 00000001180C: 7F064183
	v_exp_f32_e32 v132, v132                                   // 000000011810: 7F084184
	v_exp_f32_e32 v133, v133                                   // 000000011814: 7F0A4185
	v_exp_f32_e32 v134, v134                                   // 000000011818: 7F0C4186
	v_exp_f32_e32 v135, v135                                   // 00000001181C: 7F0E4187
	v_exp_f32_e32 v136, v136                                   // 000000011820: 7F104188
	v_exp_f32_e32 v137, v137                                   // 000000011824: 7F124189
	v_exp_f32_e32 v138, v138                                   // 000000011828: 7F14418A
	v_exp_f32_e32 v139, v139                                   // 00000001182C: 7F16418B
	v_exp_f32_e32 v140, v140                                   // 000000011830: 7F18418C
	v_exp_f32_e32 v141, v141                                   // 000000011834: 7F1A418D
	v_exp_f32_e32 v142, v142                                   // 000000011838: 7F1C418E
	v_exp_f32_e32 v143, v143                                   // 00000001183C: 7F1E418F
	v_mul_f32_dpp v240, v252, v128 quad_perm:[0,0,0,0] row_mask:0xf bank_mask:0xf// 000000011840: 0BE100FA FF0000FC
	v_mul_f32_dpp v241, v252, v129 quad_perm:[1,1,1,1] row_mask:0xf bank_mask:0xf// 000000011848: 0BE302FA FF0055FC
	v_mul_f32_dpp v242, v252, v130 quad_perm:[2,2,2,2] row_mask:0xf bank_mask:0xf// 000000011850: 0BE504FA FF00AAFC
	v_mul_f32_dpp v243, v252, v131 quad_perm:[3,3,3,3] row_mask:0xf bank_mask:0xf// 000000011858: 0BE706FA FF00FFFC
	v_mul_f32_dpp v244, v253, v132 quad_perm:[0,0,0,0] row_mask:0xf bank_mask:0xf// 000000011860: 0BE908FA FF0000FD
	v_mul_f32_dpp v245, v253, v133 quad_perm:[1,1,1,1] row_mask:0xf bank_mask:0xf// 000000011868: 0BEB0AFA FF0055FD
	v_mul_f32_dpp v246, v253, v134 quad_perm:[2,2,2,2] row_mask:0xf bank_mask:0xf// 000000011870: 0BED0CFA FF00AAFD
	v_mul_f32_dpp v247, v253, v135 quad_perm:[3,3,3,3] row_mask:0xf bank_mask:0xf// 000000011878: 0BEF0EFA FF00FFFD
	v_mul_f32_dpp v248, v254, v136 quad_perm:[0,0,0,0] row_mask:0xf bank_mask:0xf// 000000011880: 0BF110FA FF0000FE
	v_mul_f32_dpp v249, v254, v137 quad_perm:[1,1,1,1] row_mask:0xf bank_mask:0xf// 000000011888: 0BF312FA FF0055FE
	v_mul_f32_dpp v250, v254, v138 quad_perm:[2,2,2,2] row_mask:0xf bank_mask:0xf// 000000011890: 0BF514FA FF00AAFE
	v_mul_f32_dpp v251, v254, v139 quad_perm:[3,3,3,3] row_mask:0xf bank_mask:0xf// 000000011898: 0BF716FA FF00FFFE
	v_mul_f32_dpp v252, v255, v140 quad_perm:[0,0,0,0] row_mask:0xf bank_mask:0xf// 0000000118A0: 0BF918FA FF0000FF
	v_mul_f32_dpp v253, v255, v141 quad_perm:[1,1,1,1] row_mask:0xf bank_mask:0xf// 0000000118A8: 0BFB1AFA FF0055FF
	v_mul_f32_dpp v254, v255, v142 quad_perm:[2,2,2,2] row_mask:0xf bank_mask:0xf// 0000000118B0: 0BFD1CFA FF00AAFF
	v_mul_f32_dpp v255, v255, v143 quad_perm:[3,3,3,3] row_mask:0xf bank_mask:0xf// 0000000118B8: 0BFF1EFA FF00FFFF
	v_mov_b32_e32 v62, 0x358637bd                              // 0000000118C0: 7E7C02FF 358637BD
	v_max3_f32 v62, |v240|, |v241|, v62                        // 0000000118C8: D1D3033E 04FBE3F0
	v_max3_f32 v62, |v242|, |v243|, v62                        // 0000000118D0: D1D3033E 04FBE7F2
	v_max3_f32 v62, |v244|, |v245|, v62                        // 0000000118D8: D1D3033E 04FBEBF4
	v_max3_f32 v62, |v246|, |v247|, v62                        // 0000000118E0: D1D3033E 04FBEFF6
	v_max3_f32 v62, |v248|, |v249|, v62                        // 0000000118E8: D1D3033E 04FBF3F8
	v_max3_f32 v62, |v250|, |v251|, v62                        // 0000000118F0: D1D3033E 04FBF7FA
	v_max3_f32 v62, |v252|, |v253|, v62                        // 0000000118F8: D1D3033E 04FBFBFC
	v_max3_f32 v62, |v254|, |v255|, v62                        // 000000011900: D1D3033E 04FBFFFE
	ds_write_b32 v11, v62 offset:20992                         // 000000011908: D81A5200 00003E0B
	v_sub_f32_e32 v63, v14, v18                                // 000000011910: 047E250E
	v_cndmask_b32_e64 v63, v63, 0, s[40:41]                    // 000000011914: D100003F 00A1013F
	v_mov_b32_e32 v14, v18                                     // 00000001191C: 7E1C0312
	v_mul_f32_e32 v63, s64, v63                                // 000000011920: 0A7E7E40
	v_exp_f32_e32 v63, v63                                     // 000000011924: 7E7E413F
	s_waitcnt lgkmcnt(0)                                       // 000000011928: BF8CC07F
	s_barrier                                                  // 00000001192C: BF8A0000
	ds_read_b32 v80, v10 offset:20992                          // 000000011930: D86C5200 5000000A
	ds_read_b32 v81, v10 offset:21056                          // 000000011938: D86C5240 5100000A
	ds_read_b32 v82, v10 offset:21120                          // 000000011940: D86C5280 5200000A
	ds_read_b32 v83, v10 offset:21184                          // 000000011948: D86C52C0 5300000A
	ds_read_b32 v84, v10 offset:21248                          // 000000011950: D86C5300 5400000A
	ds_read_b32 v85, v10 offset:21312                          // 000000011958: D86C5340 5500000A
	ds_read_b32 v86, v10 offset:21376                          // 000000011960: D86C5380 5600000A
	ds_read_b32 v87, v10 offset:21440                          // 000000011968: D86C53C0 5700000A
	ds_read_b32 v88, v10 offset:21504                          // 000000011970: D86C5400 5800000A
	ds_read_b32 v89, v10 offset:21568                          // 000000011978: D86C5440 5900000A
	ds_read_b32 v90, v10 offset:21632                          // 000000011980: D86C5480 5A00000A
	ds_read_b32 v91, v10 offset:21696                          // 000000011988: D86C54C0 5B00000A
	ds_read_b32 v92, v10 offset:21760                          // 000000011990: D86C5500 5C00000A
	ds_read_b32 v93, v10 offset:21824                          // 000000011998: D86C5540 5D00000A
	ds_read_b32 v94, v10 offset:21888                          // 0000000119A0: D86C5580 5E00000A
	ds_read_b32 v95, v10 offset:21952                          // 0000000119A8: D86C55C0 5F00000A
	v_mul_f32_e32 v47, v63, v47                                // 0000000119B0: 0A5E5F3F
	v_mov_b32_e32 v18, v128                                    // 0000000119B4: 7E240380
	v_add_f32_e32 v18, v129, v18                               // 0000000119B8: 02242581
	v_add_f32_e32 v18, v130, v18                               // 0000000119BC: 02242582
	v_add_f32_e32 v18, v131, v18                               // 0000000119C0: 02242583
	v_add_f32_e32 v18, v132, v18                               // 0000000119C4: 02242584
	v_add_f32_e32 v18, v133, v18                               // 0000000119C8: 02242585
	v_add_f32_e32 v18, v134, v18                               // 0000000119CC: 02242586
	v_add_f32_e32 v18, v135, v18                               // 0000000119D0: 02242587
	v_add_f32_e32 v18, v136, v18                               // 0000000119D4: 02242588
	v_add_f32_e32 v18, v137, v18                               // 0000000119D8: 02242589
	v_add_f32_e32 v18, v138, v18                               // 0000000119DC: 0224258A
	v_add_f32_e32 v18, v139, v18                               // 0000000119E0: 0224258B
	v_add_f32_e32 v18, v140, v18                               // 0000000119E4: 0224258C
	v_add_f32_e32 v18, v141, v18                               // 0000000119E8: 0224258D
	v_add_f32_e32 v18, v142, v18                               // 0000000119EC: 0224258E
	v_add_f32_e32 v18, v143, v18                               // 0000000119F0: 0224258F
	v_add_f32_e32 v47, v18, v47                                // 0000000119F4: 025E5F12
	s_waitcnt lgkmcnt(0)                                       // 0000000119F8: BF8CC07F
	v_max3_f32 v62, |v80|, |v81|, v62                          // 0000000119FC: D1D3033E 04FAA350
	v_max3_f32 v62, |v82|, |v83|, v62                          // 000000011A04: D1D3033E 04FAA752
	v_max3_f32 v62, |v84|, |v85|, v62                          // 000000011A0C: D1D3033E 04FAAB54
	v_max3_f32 v62, |v86|, |v87|, v62                          // 000000011A14: D1D3033E 04FAAF56
	v_max3_f32 v62, |v88|, |v89|, v62                          // 000000011A1C: D1D3033E 04FAB358
	v_max3_f32 v62, |v90|, |v91|, v62                          // 000000011A24: D1D3033E 04FAB75A
	v_max3_f32 v62, |v92|, |v93|, v62                          // 000000011A2C: D1D3033E 04FABB5C
	v_max3_f32 v62, |v94|, |v95|, v62                          // 000000011A34: D1D3033E 04FABF5E
	s_nop 2                                                    // 000000011A3C: BF800002
	v_rcp_f32_e32 v62, v62                                     // 000000011A40: 7E7C453E
	s_nop 1                                                    // 000000011A44: BF800001
	v_mul_f32_e32 v62, 0x42fe0000, v62                         // 000000011A48: 0A7C7CFF 42FE0000
	v_mul_f32_e32 v128, v62, v240                              // 000000011A50: 0B01E13E
	v_mul_f32_e32 v129, v62, v241                              // 000000011A54: 0B03E33E
	v_mul_f32_e32 v130, v62, v242                              // 000000011A58: 0B05E53E
	v_mul_f32_e32 v131, v62, v243                              // 000000011A5C: 0B07E73E
	v_mul_f32_e32 v132, v62, v244                              // 000000011A60: 0B09E93E
	v_mul_f32_e32 v133, v62, v245                              // 000000011A64: 0B0BEB3E
	v_mul_f32_e32 v134, v62, v246                              // 000000011A68: 0B0DED3E
	v_mul_f32_e32 v135, v62, v247                              // 000000011A6C: 0B0FEF3E
	v_mul_f32_e32 v136, v62, v248                              // 000000011A70: 0B11F13E
	v_mul_f32_e32 v137, v62, v249                              // 000000011A74: 0B13F33E
	v_mul_f32_e32 v138, v62, v250                              // 000000011A78: 0B15F53E
	v_mul_f32_e32 v139, v62, v251                              // 000000011A7C: 0B17F73E
	v_mul_f32_e32 v140, v62, v252                              // 000000011A80: 0B19F93E
	v_mul_f32_e32 v141, v62, v253                              // 000000011A84: 0B1BFB3E
	v_mul_f32_e32 v142, v62, v254                              // 000000011A88: 0B1DFD3E
	v_mul_f32_e32 v143, v62, v255                              // 000000011A8C: 0B1FFF3E
	v_cvt_i32_f32_e32 v128, v128                               // 000000011A90: 7F001180
	v_cvt_i32_f32_e32 v129, v129                               // 000000011A94: 7F021181
	v_cvt_i32_f32_e32 v130, v130                               // 000000011A98: 7F041182
	v_cvt_i32_f32_e32 v131, v131                               // 000000011A9C: 7F061183
	v_cvt_i32_f32_e32 v132, v132                               // 000000011AA0: 7F081184
	v_cvt_i32_f32_e32 v133, v133                               // 000000011AA4: 7F0A1185
	v_cvt_i32_f32_e32 v134, v134                               // 000000011AA8: 7F0C1186
	v_cvt_i32_f32_e32 v135, v135                               // 000000011AAC: 7F0E1187
	v_cvt_i32_f32_e32 v136, v136                               // 000000011AB0: 7F101188
	v_cvt_i32_f32_e32 v137, v137                               // 000000011AB4: 7F121189
	v_cvt_i32_f32_e32 v138, v138                               // 000000011AB8: 7F14118A
	v_cvt_i32_f32_e32 v139, v139                               // 000000011ABC: 7F16118B
	v_cvt_i32_f32_e32 v140, v140                               // 000000011AC0: 7F18118C
	v_cvt_i32_f32_e32 v141, v141                               // 000000011AC4: 7F1A118D
	v_cvt_i32_f32_e32 v142, v142                               // 000000011AC8: 7F1C118E
	v_cvt_i32_f32_e32 v143, v143                               // 000000011ACC: 7F1E118F
	v_perm_b32 v128, v129, v128, s53                           // 000000011AD0: D1ED0080 00D70181
	v_perm_b32 v128, v130, v128, s54                           // 000000011AD8: D1ED0080 00DB0182
	v_perm_b32 v128, v131, v128, s55                           // 000000011AE0: D1ED0080 00DF0183
	v_perm_b32 v129, v133, v132, s53                           // 000000011AE8: D1ED0081 00D70985
	v_perm_b32 v129, v134, v129, s54                           // 000000011AF0: D1ED0081 00DB0386
	v_perm_b32 v129, v135, v129, s55                           // 000000011AF8: D1ED0081 00DF0387
	v_perm_b32 v130, v137, v136, s53                           // 000000011B00: D1ED0082 00D71189
	v_perm_b32 v130, v138, v130, s54                           // 000000011B08: D1ED0082 00DB058A
	v_perm_b32 v130, v139, v130, s55                           // 000000011B10: D1ED0082 00DF058B
	v_perm_b32 v131, v141, v140, s53                           // 000000011B18: D1ED0083 00D7198D
	v_perm_b32 v131, v142, v131, s54                           // 000000011B20: D1ED0083 00DB078E
	v_perm_b32 v131, v143, v131, s55                           // 000000011B28: D1ED0083 00DF078F
	ds_write_b32 v13, v128 offset:25088                        // 000000011B30: D81A6200 0000800D
	ds_write_b32 v13, v129 offset:26112                        // 000000011B38: D81A6600 0000810D
	ds_write_b32 v13, v130 offset:27136                        // 000000011B40: D81A6A00 0000820D
	ds_write_b32 v13, v131 offset:28160                        // 000000011B48: D81A6E00 0000830D
	v_add_f32_e32 v224, v224, v192                             // 000000011B50: 03C181E0
	v_add_f32_e32 v225, v225, v193                             // 000000011B54: 03C383E1
	v_add_f32_e32 v226, v226, v194                             // 000000011B58: 03C585E2
	v_add_f32_e32 v227, v227, v195                             // 000000011B5C: 03C787E3
	v_add_f32_e32 v228, v228, v196                             // 000000011B60: 03C989E4
	v_add_f32_e32 v229, v229, v197                             // 000000011B64: 03CB8BE5
	v_add_f32_e32 v230, v230, v198                             // 000000011B68: 03CD8DE6
	v_add_f32_e32 v231, v231, v199                             // 000000011B6C: 03CF8FE7
	v_rcp_f32_e32 v58, v62                                     // 000000011B70: 7E74453E
	s_waitcnt lgkmcnt(0)                                       // 000000011B74: BF8CC07F
	s_barrier                                                  // 000000011B78: BF8A0000
	ds_read_b64 v[128:129], v12 offset:25088                   // 000000011B7C: D8EC6200 8000000C
	ds_read_b64 v[130:131], v12 offset:25216                   // 000000011B84: D8EC6280 8200000C
	ds_read_b64 v[132:133], v12 offset:26112                   // 000000011B8C: D8EC6600 8400000C
	ds_read_b64 v[134:135], v12 offset:26240                   // 000000011B94: D8EC6680 8600000C
	ds_read_b64 v[136:137], v12 offset:27136                   // 000000011B9C: D8EC6A00 8800000C
	ds_read_b64 v[138:139], v12 offset:27264                   // 000000011BA4: D8EC6A80 8A00000C
	ds_read_b64 v[140:141], v12 offset:28160                   // 000000011BAC: D8EC6E00 8C00000C
	ds_read_b64 v[142:143], v12 offset:28288                   // 000000011BB4: D8EC6E80 8E00000C
	v_mov_b32_dpp v41, v52 row_shr:4 row_mask:0xf bank_mask:0xf// 000000011BBC: 7E5202FA FF011434
	v_mov_b32_dpp v42, v52 row_shl:4 row_mask:0xf bank_mask:0xf// 000000011BC4: 7E5402FA FF010434
	v_cndmask_b32_e64 v248, v52, v41, s[44:45]                 // 000000011BCC: D10000F8 00B25334
	v_cndmask_b32_e64 v249, v42, v52, s[44:45]                 // 000000011BD4: D10000F9 00B2692A
	v_mov_b32_dpp v41, v248 row_shr:8 row_mask:0xf bank_mask:0xf// 000000011BDC: 7E5202FA FF0118F8
	v_mov_b32_dpp v42, v248 row_shl:8 row_mask:0xf bank_mask:0xf// 000000011BE4: 7E5402FA FF0108F8
	v_mov_b32_dpp v43, v249 row_shr:8 row_mask:0xf bank_mask:0xf// 000000011BEC: 7E5602FA FF0118F9
	v_mov_b32_dpp v44, v249 row_shl:8 row_mask:0xf bank_mask:0xf// 000000011BF4: 7E5802FA FF0108F9
	v_mov_b32_e32 v45, v248                                    // 000000011BFC: 7E5A03F8
	v_mov_b32_e32 v46, v249                                    // 000000011C00: 7E5C03F9
	v_cndmask_b32_e64 v248, v45, v41, s[42:43]                 // 000000011C04: D10000F8 00AA532D
	v_cndmask_b32_e64 v250, v45, v42, s[78:79]                 // 000000011C0C: D10000FA 013A552D
	v_cndmask_b32_e64 v249, v46, v43, s[42:43]                 // 000000011C14: D10000F9 00AA572E
	v_cndmask_b32_e64 v251, v46, v44, s[78:79]                 // 000000011C1C: D10000FB 013A592E
	v_mov_b32_dpp v41, v72 row_shr:4 row_mask:0xf bank_mask:0xf// 000000011C24: 7E5202FA FF011448
	v_mov_b32_dpp v42, v72 row_shl:4 row_mask:0xf bank_mask:0xf// 000000011C2C: 7E5402FA FF010448
	v_cndmask_b32_e64 v252, v72, v41, s[44:45]                 // 000000011C34: D10000FC 00B25348
	v_cndmask_b32_e64 v253, v42, v72, s[44:45]                 // 000000011C3C: D10000FD 00B2912A
	v_mov_b32_dpp v41, v252 row_shr:8 row_mask:0xf bank_mask:0xf// 000000011C44: 7E5202FA FF0118FC
	v_mov_b32_dpp v42, v252 row_shl:8 row_mask:0xf bank_mask:0xf// 000000011C4C: 7E5402FA FF0108FC
	v_mov_b32_dpp v43, v253 row_shr:8 row_mask:0xf bank_mask:0xf// 000000011C54: 7E5602FA FF0118FD
	v_mov_b32_dpp v44, v253 row_shl:8 row_mask:0xf bank_mask:0xf// 000000011C5C: 7E5802FA FF0108FD
	v_mov_b32_e32 v45, v252                                    // 000000011C64: 7E5A03FC
	v_mov_b32_e32 v46, v253                                    // 000000011C68: 7E5C03FD
	v_cndmask_b32_e64 v252, v45, v41, s[42:43]                 // 000000011C6C: D10000FC 00AA532D
	v_cndmask_b32_e64 v254, v45, v42, s[78:79]                 // 000000011C74: D10000FE 013A552D
	v_cndmask_b32_e64 v253, v46, v43, s[42:43]                 // 000000011C7C: D10000FD 00AA572E
	v_cndmask_b32_e64 v255, v46, v44, s[78:79]                 // 000000011C84: D10000FF 013A592E
	v_cvt_f32_i32_e32 v144, v144                               // 000000011C8C: 7F200B90
	v_cvt_f32_i32_e32 v145, v145                               // 000000011C90: 7F220B91
	v_cvt_f32_i32_e32 v146, v146                               // 000000011C94: 7F240B92
	v_cvt_f32_i32_e32 v147, v147                               // 000000011C98: 7F260B93
	v_cvt_f32_i32_e32 v148, v148                               // 000000011C9C: 7F280B94
	v_cvt_f32_i32_e32 v149, v149                               // 000000011CA0: 7F2A0B95
	v_cvt_f32_i32_e32 v150, v150                               // 000000011CA4: 7F2C0B96
	v_cvt_f32_i32_e32 v151, v151                               // 000000011CA8: 7F2E0B97
	v_cvt_f32_i32_e32 v152, v152                               // 000000011CAC: 7F300B98
	v_cvt_f32_i32_e32 v153, v153                               // 000000011CB0: 7F320B99
	v_cvt_f32_i32_e32 v154, v154                               // 000000011CB4: 7F340B9A
	v_cvt_f32_i32_e32 v155, v155                               // 000000011CB8: 7F360B9B
	v_cvt_f32_i32_e32 v156, v156                               // 000000011CBC: 7F380B9C
	v_cvt_f32_i32_e32 v157, v157                               // 000000011CC0: 7F3A0B9D
	v_cvt_f32_i32_e32 v158, v158                               // 000000011CC4: 7F3C0B9E
	v_cvt_f32_i32_e32 v159, v159                               // 000000011CC8: 7F3E0B9F
	v_mul_f32_e32 v144, v55, v144                              // 000000011CCC: 0B212137
	v_mul_f32_e32 v145, v55, v145                              // 000000011CD0: 0B232337
	v_mul_f32_e32 v146, v55, v146                              // 000000011CD4: 0B252537
	v_mul_f32_e32 v147, v55, v147                              // 000000011CD8: 0B272737
	v_mul_f32_e32 v148, v55, v148                              // 000000011CDC: 0B292937
	v_mul_f32_e32 v149, v55, v149                              // 000000011CE0: 0B2B2B37
	v_mul_f32_e32 v150, v55, v150                              // 000000011CE4: 0B2D2D37
	v_mul_f32_e32 v151, v55, v151                              // 000000011CE8: 0B2F2F37
	v_mul_f32_e32 v152, v55, v152                              // 000000011CEC: 0B313137
	v_mul_f32_e32 v153, v55, v153                              // 000000011CF0: 0B333337
	v_mul_f32_e32 v154, v55, v154                              // 000000011CF4: 0B353537
	v_mul_f32_e32 v155, v55, v155                              // 000000011CF8: 0B373737
	v_mul_f32_e32 v156, v55, v156                              // 000000011CFC: 0B393937
	v_mul_f32_e32 v157, v55, v157                              // 000000011D00: 0B3B3B37
	v_mul_f32_e32 v158, v55, v158                              // 000000011D04: 0B3D3D37
	v_mul_f32_e32 v159, v55, v159                              // 000000011D08: 0B3F3F37
	v_mul_f32_dpp v144, v248, v144 quad_perm:[0,0,0,0] row_mask:0xf bank_mask:0xf// 000000011D0C: 0B2120FA FF0000F8
	v_mul_f32_dpp v145, v248, v145 quad_perm:[1,1,1,1] row_mask:0xf bank_mask:0xf// 000000011D14: 0B2322FA FF0055F8
	v_mul_f32_dpp v146, v248, v146 quad_perm:[2,2,2,2] row_mask:0xf bank_mask:0xf// 000000011D1C: 0B2524FA FF00AAF8
	v_mul_f32_dpp v147, v248, v147 quad_perm:[3,3,3,3] row_mask:0xf bank_mask:0xf// 000000011D24: 0B2726FA FF00FFF8
	v_mul_f32_dpp v148, v249, v148 quad_perm:[0,0,0,0] row_mask:0xf bank_mask:0xf// 000000011D2C: 0B2928FA FF0000F9
	v_mul_f32_dpp v149, v249, v149 quad_perm:[1,1,1,1] row_mask:0xf bank_mask:0xf// 000000011D34: 0B2B2AFA FF0055F9
	v_mul_f32_dpp v150, v249, v150 quad_perm:[2,2,2,2] row_mask:0xf bank_mask:0xf// 000000011D3C: 0B2D2CFA FF00AAF9
	v_mul_f32_dpp v151, v249, v151 quad_perm:[3,3,3,3] row_mask:0xf bank_mask:0xf// 000000011D44: 0B2F2EFA FF00FFF9
	v_mul_f32_dpp v152, v250, v152 quad_perm:[0,0,0,0] row_mask:0xf bank_mask:0xf// 000000011D4C: 0B3130FA FF0000FA
	v_mul_f32_dpp v153, v250, v153 quad_perm:[1,1,1,1] row_mask:0xf bank_mask:0xf// 000000011D54: 0B3332FA FF0055FA
	v_mul_f32_dpp v154, v250, v154 quad_perm:[2,2,2,2] row_mask:0xf bank_mask:0xf// 000000011D5C: 0B3534FA FF00AAFA
	v_mul_f32_dpp v155, v250, v155 quad_perm:[3,3,3,3] row_mask:0xf bank_mask:0xf// 000000011D64: 0B3736FA FF00FFFA
	v_mul_f32_dpp v156, v251, v156 quad_perm:[0,0,0,0] row_mask:0xf bank_mask:0xf// 000000011D6C: 0B3938FA FF0000FB
	v_mul_f32_dpp v157, v251, v157 quad_perm:[1,1,1,1] row_mask:0xf bank_mask:0xf// 000000011D74: 0B3B3AFA FF0055FB
	v_mul_f32_dpp v158, v251, v158 quad_perm:[2,2,2,2] row_mask:0xf bank_mask:0xf// 000000011D7C: 0B3D3CFA FF00AAFB
	v_mul_f32_dpp v159, v251, v159 quad_perm:[3,3,3,3] row_mask:0xf bank_mask:0xf// 000000011D84: 0B3F3EFA FF00FFFB
	s_cmp_le_i32 s90, s89                                      // 000000011D8C: BF05595A
	s_cbranch_scc1 label_3F58                                  // 000000011D90: BF850073
	v_mov_b32_e32 v69, 0xff800000                              // 000000011D94: 7E8A02FF FF800000
	s_mov_b32 s60, s90                                         // 000000011D9C: BEBC005A
	s_add_u32 s61, s89, 0xff                                   // 000000011DA0: 803DFF59 000000FF
	v_mov_b32_e32 v41, s61                                     // 000000011DA8: 7E52023D
	v_lshrrev_b32_e32 v240, 4, v0                              // 000000011DAC: 21E00084
	v_mul_i32_i24_e32 v240, 4, v240                            // 000000011DB0: 0DE1E084
	v_add_u32_e32 v240, s60, v240                              // 000000011DB4: 69E1E03C
	v_and_b32_e32 v42, 15, v0                                  // 000000011DB8: 2654008F
	v_lshrrev_b32_e32 v42, 3, v42                              // 000000011DBC: 20545483
	s_mov_b32 s61, 2                                           // 000000011DC0: BEBD0082
	s_mul_i32 s60, 16, s7                                      // 000000011DC4: 923C0790
	v_add_u32_e32 v42, s61, v42                                // 000000011DC8: 6854543D
	v_sub_u32_e32 v240, v240, v42                              // 000000011DCC: 6BE055F0
	v_add_u32_e32 v240, s60, v240                              // 000000011DD0: 69E1E03C
	v_add_u32_e32 v241, 1, v240                                // 000000011DD4: 69E3E081
	v_add_u32_e32 v242, 2, v240                                // 000000011DD8: 69E5E082
	v_add_u32_e32 v243, 3, v240                                // 000000011DDC: 69E7E083
	v_cmp_le_u32_e64 s[40:41], v240, v41                       // 000000011DE0: D0CB0028 000253F0
	v_add_u32_e32 v240, 64, v240                               // 000000011DE8: 69E1E0C0
	s_nop 0                                                    // 000000011DEC: BF800000
	v_cndmask_b32_e64 v144, v69, v144, s[40:41]                // 000000011DF0: D1000090 00A32145
	v_cmp_le_u32_e64 s[40:41], v241, v41                       // 000000011DF8: D0CB0028 000253F1
	v_add_u32_e32 v241, 64, v241                               // 000000011E00: 69E3E2C0
	s_nop 0                                                    // 000000011E04: BF800000
	v_cndmask_b32_e64 v145, v69, v145, s[40:41]                // 000000011E08: D1000091 00A32345
	v_cmp_le_u32_e64 s[40:41], v242, v41                       // 000000011E10: D0CB0028 000253F2
	v_add_u32_e32 v242, 64, v242                               // 000000011E18: 69E5E4C0
	s_nop 0                                                    // 000000011E1C: BF800000
	v_cndmask_b32_e64 v146, v69, v146, s[40:41]                // 000000011E20: D1000092 00A32545
	v_cmp_le_u32_e64 s[40:41], v243, v41                       // 000000011E28: D0CB0028 000253F3
	v_add_u32_e32 v243, 64, v243                               // 000000011E30: 69E7E6C0
	s_nop 0                                                    // 000000011E34: BF800000
	v_cndmask_b32_e64 v147, v69, v147, s[40:41]                // 000000011E38: D1000093 00A32745
	v_cmp_le_u32_e64 s[40:41], v240, v41                       // 000000011E40: D0CB0028 000253F0
	v_add_u32_e32 v240, 64, v240                               // 000000011E48: 69E1E0C0
	s_nop 0                                                    // 000000011E4C: BF800000
	v_cndmask_b32_e64 v148, v69, v148, s[40:41]                // 000000011E50: D1000094 00A32945
	v_cmp_le_u32_e64 s[40:41], v241, v41                       // 000000011E58: D0CB0028 000253F1
	v_add_u32_e32 v241, 64, v241                               // 000000011E60: 69E3E2C0
	s_nop 0                                                    // 000000011E64: BF800000
	v_cndmask_b32_e64 v149, v69, v149, s[40:41]                // 000000011E68: D1000095 00A32B45
	v_cmp_le_u32_e64 s[40:41], v242, v41                       // 000000011E70: D0CB0028 000253F2
	v_add_u32_e32 v242, 64, v242                               // 000000011E78: 69E5E4C0
	s_nop 0                                                    // 000000011E7C: BF800000
	v_cndmask_b32_e64 v150, v69, v150, s[40:41]                // 000000011E80: D1000096 00A32D45
	v_cmp_le_u32_e64 s[40:41], v243, v41                       // 000000011E88: D0CB0028 000253F3
	v_add_u32_e32 v243, 64, v243                               // 000000011E90: 69E7E6C0
	s_nop 0                                                    // 000000011E94: BF800000
	v_cndmask_b32_e64 v151, v69, v151, s[40:41]                // 000000011E98: D1000097 00A32F45
	v_cmp_le_u32_e64 s[40:41], v240, v41                       // 000000011EA0: D0CB0028 000253F0
	v_add_u32_e32 v240, 64, v240                               // 000000011EA8: 69E1E0C0
	s_nop 0                                                    // 000000011EAC: BF800000
	v_cndmask_b32_e64 v152, v69, v152, s[40:41]                // 000000011EB0: D1000098 00A33145
	v_cmp_le_u32_e64 s[40:41], v241, v41                       // 000000011EB8: D0CB0028 000253F1
	v_add_u32_e32 v241, 64, v241                               // 000000011EC0: 69E3E2C0
	s_nop 0                                                    // 000000011EC4: BF800000
	v_cndmask_b32_e64 v153, v69, v153, s[40:41]                // 000000011EC8: D1000099 00A33345
	v_cmp_le_u32_e64 s[40:41], v242, v41                       // 000000011ED0: D0CB0028 000253F2
	v_add_u32_e32 v242, 64, v242                               // 000000011ED8: 69E5E4C0
	s_nop 0                                                    // 000000011EDC: BF800000
	v_cndmask_b32_e64 v154, v69, v154, s[40:41]                // 000000011EE0: D100009A 00A33545
	v_cmp_le_u32_e64 s[40:41], v243, v41                       // 000000011EE8: D0CB0028 000253F3
	v_add_u32_e32 v243, 64, v243                               // 000000011EF0: 69E7E6C0
	s_nop 0                                                    // 000000011EF4: BF800000
	v_cndmask_b32_e64 v155, v69, v155, s[40:41]                // 000000011EF8: D100009B 00A33745
	v_cmp_le_u32_e64 s[40:41], v240, v41                       // 000000011F00: D0CB0028 000253F0
	v_add_u32_e32 v240, 64, v240                               // 000000011F08: 69E1E0C0
	s_nop 0                                                    // 000000011F0C: BF800000
	v_cndmask_b32_e64 v156, v69, v156, s[40:41]                // 000000011F10: D100009C 00A33945
	v_cmp_le_u32_e64 s[40:41], v241, v41                       // 000000011F18: D0CB0028 000253F1
	v_add_u32_e32 v241, 64, v241                               // 000000011F20: 69E3E2C0
	s_nop 0                                                    // 000000011F24: BF800000
	v_cndmask_b32_e64 v157, v69, v157, s[40:41]                // 000000011F28: D100009D 00A33B45
	v_cmp_le_u32_e64 s[40:41], v242, v41                       // 000000011F30: D0CB0028 000253F2
	v_add_u32_e32 v242, 64, v242                               // 000000011F38: 69E5E4C0
	s_nop 0                                                    // 000000011F3C: BF800000
	v_cndmask_b32_e64 v158, v69, v158, s[40:41]                // 000000011F40: D100009E 00A33D45
	v_cmp_le_u32_e64 s[40:41], v243, v41                       // 000000011F48: D0CB0028 000253F3
	v_add_u32_e32 v243, 64, v243                               // 000000011F50: 69E7E6C0
	s_nop 0                                                    // 000000011F54: BF800000
	v_cndmask_b32_e64 v159, v69, v159, s[40:41]                // 000000011F58: D100009F 00A33F45

0000000000011f60 <label_3F58>:
	s_add_u32 s90, s91, s90                                    // 000000011F60: 805A5A5B
	s_and_b32 s60, s72, 0xff                                   // 000000011F64: 863CFF48 000000FF
	v_mov_b32_e32 v42, s60                                     // 000000011F6C: 7E54023C
	v_lshrrev_b32_e32 v240, 4, v0                              // 000000011F70: 21E00084
	v_mul_i32_i24_e32 v240, 4, v240                            // 000000011F74: 0DE1E084
	s_mul_i32 s60, s7, 16                                      // 000000011F78: 923C9007
	v_add_u32_e32 v240, s60, v240                              // 000000011F7C: 69E1E03C
	v_add_u32_e32 v241, 1, v240                                // 000000011F80: 69E3E081
	v_add_u32_e32 v242, 2, v240                                // 000000011F84: 69E5E082
	v_add_u32_e32 v243, 3, v240                                // 000000011F88: 69E7E083
	v_mov_b32_e32 v41, 0xff800000                              // 000000011F8C: 7E5202FF FF800000
	v_cmp_lt_u32_e64 s[40:41], v240, v42                       // 000000011F94: D0C90028 000255F0
	v_add_u32_e32 v240, 64, v240                               // 000000011F9C: 69E1E0C0
	s_nop 0                                                    // 000000011FA0: BF800000
	v_cndmask_b32_e64 v144, v41, v144, s[40:41]                // 000000011FA4: D1000090 00A32129
	v_cmp_lt_u32_e64 s[40:41], v241, v42                       // 000000011FAC: D0C90028 000255F1
	v_add_u32_e32 v241, 64, v241                               // 000000011FB4: 69E3E2C0
	s_nop 0                                                    // 000000011FB8: BF800000
	v_cndmask_b32_e64 v145, v41, v145, s[40:41]                // 000000011FBC: D1000091 00A32329
	v_cmp_lt_u32_e64 s[40:41], v242, v42                       // 000000011FC4: D0C90028 000255F2
	v_add_u32_e32 v242, 64, v242                               // 000000011FCC: 69E5E4C0
	s_nop 0                                                    // 000000011FD0: BF800000
	v_cndmask_b32_e64 v146, v41, v146, s[40:41]                // 000000011FD4: D1000092 00A32529
	v_cmp_lt_u32_e64 s[40:41], v243, v42                       // 000000011FDC: D0C90028 000255F3
	v_add_u32_e32 v243, 64, v243                               // 000000011FE4: 69E7E6C0
	s_nop 0                                                    // 000000011FE8: BF800000
	v_cndmask_b32_e64 v147, v41, v147, s[40:41]                // 000000011FEC: D1000093 00A32729
	v_cmp_lt_u32_e64 s[40:41], v240, v42                       // 000000011FF4: D0C90028 000255F0
	v_add_u32_e32 v240, 64, v240                               // 000000011FFC: 69E1E0C0
	s_nop 0                                                    // 000000012000: BF800000
	v_cndmask_b32_e64 v148, v41, v148, s[40:41]                // 000000012004: D1000094 00A32929
	v_cmp_lt_u32_e64 s[40:41], v241, v42                       // 00000001200C: D0C90028 000255F1
	v_add_u32_e32 v241, 64, v241                               // 000000012014: 69E3E2C0
	s_nop 0                                                    // 000000012018: BF800000
	v_cndmask_b32_e64 v149, v41, v149, s[40:41]                // 00000001201C: D1000095 00A32B29
	v_cmp_lt_u32_e64 s[40:41], v242, v42                       // 000000012024: D0C90028 000255F2
	v_add_u32_e32 v242, 64, v242                               // 00000001202C: 69E5E4C0
	s_nop 0                                                    // 000000012030: BF800000
	v_cndmask_b32_e64 v150, v41, v150, s[40:41]                // 000000012034: D1000096 00A32D29
	v_cmp_lt_u32_e64 s[40:41], v243, v42                       // 00000001203C: D0C90028 000255F3
	v_add_u32_e32 v243, 64, v243                               // 000000012044: 69E7E6C0
	s_nop 0                                                    // 000000012048: BF800000
	v_cndmask_b32_e64 v151, v41, v151, s[40:41]                // 00000001204C: D1000097 00A32F29
	v_cmp_lt_u32_e64 s[40:41], v240, v42                       // 000000012054: D0C90028 000255F0
	v_add_u32_e32 v240, 64, v240                               // 00000001205C: 69E1E0C0
	s_nop 0                                                    // 000000012060: BF800000
	v_cndmask_b32_e64 v152, v41, v152, s[40:41]                // 000000012064: D1000098 00A33129
	v_cmp_lt_u32_e64 s[40:41], v241, v42                       // 00000001206C: D0C90028 000255F1
	v_add_u32_e32 v241, 64, v241                               // 000000012074: 69E3E2C0
	s_nop 0                                                    // 000000012078: BF800000
	v_cndmask_b32_e64 v153, v41, v153, s[40:41]                // 00000001207C: D1000099 00A33329
	v_cmp_lt_u32_e64 s[40:41], v242, v42                       // 000000012084: D0C90028 000255F2
	v_add_u32_e32 v242, 64, v242                               // 00000001208C: 69E5E4C0
	s_nop 0                                                    // 000000012090: BF800000
	v_cndmask_b32_e64 v154, v41, v154, s[40:41]                // 000000012094: D100009A 00A33529
	v_cmp_lt_u32_e64 s[40:41], v243, v42                       // 00000001209C: D0C90028 000255F3
	v_add_u32_e32 v243, 64, v243                               // 0000000120A4: 69E7E6C0
	s_nop 0                                                    // 0000000120A8: BF800000
	v_cndmask_b32_e64 v155, v41, v155, s[40:41]                // 0000000120AC: D100009B 00A33729
	v_cmp_lt_u32_e64 s[40:41], v240, v42                       // 0000000120B4: D0C90028 000255F0
	v_add_u32_e32 v240, 64, v240                               // 0000000120BC: 69E1E0C0
	s_nop 0                                                    // 0000000120C0: BF800000
	v_cndmask_b32_e64 v156, v41, v156, s[40:41]                // 0000000120C4: D100009C 00A33929
	v_cmp_lt_u32_e64 s[40:41], v241, v42                       // 0000000120CC: D0C90028 000255F1
	v_add_u32_e32 v241, 64, v241                               // 0000000120D4: 69E3E2C0
	s_nop 0                                                    // 0000000120D8: BF800000
	v_cndmask_b32_e64 v157, v41, v157, s[40:41]                // 0000000120DC: D100009D 00A33B29
	v_cmp_lt_u32_e64 s[40:41], v242, v42                       // 0000000120E4: D0C90028 000255F2
	v_add_u32_e32 v242, 64, v242                               // 0000000120EC: 69E5E4C0
	s_nop 0                                                    // 0000000120F0: BF800000
	v_cndmask_b32_e64 v158, v41, v158, s[40:41]                // 0000000120F4: D100009E 00A33D29
	v_cmp_lt_u32_e64 s[40:41], v243, v42                       // 0000000120FC: D0C90028 000255F3
	v_add_u32_e32 v243, 64, v243                               // 000000012104: 69E7E6C0
	s_nop 0                                                    // 000000012108: BF800000
	v_cndmask_b32_e64 v159, v41, v159, s[40:41]                // 00000001210C: D100009F 00A33F29
	v_mov_b32_e32 v62, v144                                    // 000000012114: 7E7C0390
	v_max3_f32 v62, v144, v145, v62                            // 000000012118: D1D3003E 04FB2390
	v_max3_f32 v62, v146, v147, v62                            // 000000012120: D1D3003E 04FB2792
	v_max3_f32 v62, v148, v149, v62                            // 000000012128: D1D3003E 04FB2B94
	v_max3_f32 v62, v150, v151, v62                            // 000000012130: D1D3003E 04FB2F96
	v_max3_f32 v62, v152, v153, v62                            // 000000012138: D1D3003E 04FB3398
	v_max3_f32 v62, v154, v155, v62                            // 000000012140: D1D3003E 04FB379A
	v_max3_f32 v62, v156, v157, v62                            // 000000012148: D1D3003E 04FB3B9C
	v_max3_f32 v62, v158, v159, v62                            // 000000012150: D1D3003E 04FB3F9E
	ds_write_b32 v11, v62 offset:16896                         // 000000012158: D81A4200 00003E0B
	v_mul_f32_e32 v232, v64, v232                              // 000000012160: 0BD1D140
	v_mul_f32_e32 v233, v64, v233                              // 000000012164: 0BD3D340
	v_mul_f32_e32 v234, v64, v234                              // 000000012168: 0BD5D540
	v_mul_f32_e32 v235, v64, v235                              // 00000001216C: 0BD7D740
	v_mul_f32_e32 v236, v64, v236                              // 000000012170: 0BD9D940
	v_mul_f32_e32 v237, v64, v237                              // 000000012174: 0BDBDB40
	v_mul_f32_e32 v238, v64, v238                              // 000000012178: 0BDDDD40
	v_mul_f32_e32 v239, v64, v239                              // 00000001217C: 0BDFDF40
	s_waitcnt lgkmcnt(0)                                       // 000000012180: BF8CC07F
	s_barrier                                                  // 000000012184: BF8A0000
	ds_read_b32 v80, v10 offset:16896                          // 000000012188: D86C4200 5000000A
	ds_read_b32 v81, v10 offset:16960                          // 000000012190: D86C4240 5100000A
	ds_read_b32 v82, v10 offset:17024                          // 000000012198: D86C4280 5200000A
	ds_read_b32 v83, v10 offset:17088                          // 0000000121A0: D86C42C0 5300000A
	ds_read_b32 v84, v10 offset:17152                          // 0000000121A8: D86C4300 5400000A
	ds_read_b32 v85, v10 offset:17216                          // 0000000121B0: D86C4340 5500000A
	ds_read_b32 v86, v10 offset:17280                          // 0000000121B8: D86C4380 5600000A
	ds_read_b32 v87, v10 offset:17344                          // 0000000121C0: D86C43C0 5700000A
	ds_read_b32 v88, v10 offset:17408                          // 0000000121C8: D86C4400 5800000A
	ds_read_b32 v89, v10 offset:17472                          // 0000000121D0: D86C4440 5900000A
	ds_read_b32 v90, v10 offset:17536                          // 0000000121D8: D86C4480 5A00000A
	ds_read_b32 v91, v10 offset:17600                          // 0000000121E0: D86C44C0 5B00000A
	ds_read_b32 v92, v10 offset:17664                          // 0000000121E8: D86C4500 5C00000A
	ds_read_b32 v93, v10 offset:17728                          // 0000000121F0: D86C4540 5D00000A
	ds_read_b32 v94, v10 offset:17792                          // 0000000121F8: D86C4580 5E00000A
	ds_read_b32 v95, v10 offset:17856                          // 000000012200: D86C45C0 5F00000A
	v_cvt_f32_i32_e32 v200, v200                               // 000000012208: 7F900BC8
	v_cvt_f32_i32_e32 v201, v201                               // 00000001220C: 7F920BC9
	v_cvt_f32_i32_e32 v202, v202                               // 000000012210: 7F940BCA
	v_cvt_f32_i32_e32 v203, v203                               // 000000012214: 7F960BCB
	v_cvt_f32_i32_e32 v204, v204                               // 000000012218: 7F980BCC
	v_cvt_f32_i32_e32 v205, v205                               // 00000001221C: 7F9A0BCD
	v_cvt_f32_i32_e32 v206, v206                               // 000000012220: 7F9C0BCE
	v_cvt_f32_i32_e32 v207, v207                               // 000000012224: 7F9E0BCF
	v_mul_f32_e32 v200, v59, v200                              // 000000012228: 0B91913B
	v_mul_f32_e32 v201, v59, v201                              // 00000001222C: 0B93933B
	v_mul_f32_e32 v202, v59, v202                              // 000000012230: 0B95953B
	v_mul_f32_e32 v203, v59, v203                              // 000000012234: 0B97973B
	v_mul_f32_e32 v204, v59, v204                              // 000000012238: 0B99993B
	v_mul_f32_e32 v205, v59, v205                              // 00000001223C: 0B9B9B3B
	v_mul_f32_e32 v206, v59, v206                              // 000000012240: 0B9D9D3B
	v_mul_f32_e32 v207, v59, v207                              // 000000012244: 0B9F9F3B
	s_waitcnt lgkmcnt(0)                                       // 000000012248: BF8CC07F
	v_max3_f32 v62, v80, v81, v62                              // 00000001224C: D1D3003E 04FAA350
	v_max3_f32 v62, v82, v83, v62                              // 000000012254: D1D3003E 04FAA752
	v_max3_f32 v62, v84, v85, v62                              // 00000001225C: D1D3003E 04FAAB54
	v_max3_f32 v62, v86, v87, v62                              // 000000012264: D1D3003E 04FAAF56
	v_max3_f32 v62, v88, v89, v62                              // 00000001226C: D1D3003E 04FAB358
	v_max3_f32 v62, v90, v91, v62                              // 000000012274: D1D3003E 04FAB75A
	v_max3_f32 v62, v92, v93, v62                              // 00000001227C: D1D3003E 04FABB5C
	v_max3_f32 v62, v94, v95, v62                              // 000000012284: D1D3003E 04FABF5E
	v_mov_b32_e32 v41, 0xff800000                              // 00000001228C: 7E5202FF FF800000
	v_cmp_eq_u32_e64 s[40:41], v41, v15                        // 000000012294: D0CA0028 00021F29
	s_nop 1                                                    // 00000001229C: BF800001
	v_max_f32_e32 v18, v62, v15                                // 0000000122A0: 16241F3E
	v_mul_f32_e32 v67, s64, v18                                // 0000000122A4: 0A862440
	v_fma_f32 v144, v144, s64, -v67                            // 0000000122A8: D1CB0090 850C8190
	v_fma_f32 v145, v145, s64, -v67                            // 0000000122B0: D1CB0091 850C8191
	v_fma_f32 v146, v146, s64, -v67                            // 0000000122B8: D1CB0092 850C8192
	v_fma_f32 v147, v147, s64, -v67                            // 0000000122C0: D1CB0093 850C8193
	v_fma_f32 v148, v148, s64, -v67                            // 0000000122C8: D1CB0094 850C8194
	v_fma_f32 v149, v149, s64, -v67                            // 0000000122D0: D1CB0095 850C8195
	v_fma_f32 v150, v150, s64, -v67                            // 0000000122D8: D1CB0096 850C8196
	v_fma_f32 v151, v151, s64, -v67                            // 0000000122E0: D1CB0097 850C8197
	v_fma_f32 v152, v152, s64, -v67                            // 0000000122E8: D1CB0098 850C8198
	v_fma_f32 v153, v153, s64, -v67                            // 0000000122F0: D1CB0099 850C8199
	v_fma_f32 v154, v154, s64, -v67                            // 0000000122F8: D1CB009A 850C819A
	v_fma_f32 v155, v155, s64, -v67                            // 000000012300: D1CB009B 850C819B
	v_fma_f32 v156, v156, s64, -v67                            // 000000012308: D1CB009C 850C819C
	v_fma_f32 v157, v157, s64, -v67                            // 000000012310: D1CB009D 850C819D
	v_fma_f32 v158, v158, s64, -v67                            // 000000012318: D1CB009E 850C819E
	v_fma_f32 v159, v159, s64, -v67                            // 000000012320: D1CB009F 850C819F
	v_exp_f32_e32 v144, v144                                   // 000000012328: 7F204190
	v_exp_f32_e32 v145, v145                                   // 00000001232C: 7F224191
	v_exp_f32_e32 v146, v146                                   // 000000012330: 7F244192
	v_exp_f32_e32 v147, v147                                   // 000000012334: 7F264193
	v_exp_f32_e32 v148, v148                                   // 000000012338: 7F284194
	v_exp_f32_e32 v149, v149                                   // 00000001233C: 7F2A4195
	v_exp_f32_e32 v150, v150                                   // 000000012340: 7F2C4196
	v_exp_f32_e32 v151, v151                                   // 000000012344: 7F2E4197
	v_exp_f32_e32 v152, v152                                   // 000000012348: 7F304198
	v_exp_f32_e32 v153, v153                                   // 00000001234C: 7F324199
	v_exp_f32_e32 v154, v154                                   // 000000012350: 7F34419A
	v_exp_f32_e32 v155, v155                                   // 000000012354: 7F36419B
	v_exp_f32_e32 v156, v156                                   // 000000012358: 7F38419C
	v_exp_f32_e32 v157, v157                                   // 00000001235C: 7F3A419D
	v_exp_f32_e32 v158, v158                                   // 000000012360: 7F3C419E
	v_exp_f32_e32 v159, v159                                   // 000000012364: 7F3E419F
	v_mul_f32_dpp v240, v252, v144 quad_perm:[0,0,0,0] row_mask:0xf bank_mask:0xf// 000000012368: 0BE120FA FF0000FC
	v_mul_f32_dpp v241, v252, v145 quad_perm:[1,1,1,1] row_mask:0xf bank_mask:0xf// 000000012370: 0BE322FA FF0055FC
	v_mul_f32_dpp v242, v252, v146 quad_perm:[2,2,2,2] row_mask:0xf bank_mask:0xf// 000000012378: 0BE524FA FF00AAFC
	v_mul_f32_dpp v243, v252, v147 quad_perm:[3,3,3,3] row_mask:0xf bank_mask:0xf// 000000012380: 0BE726FA FF00FFFC
	v_mul_f32_dpp v244, v253, v148 quad_perm:[0,0,0,0] row_mask:0xf bank_mask:0xf// 000000012388: 0BE928FA FF0000FD
	v_mul_f32_dpp v245, v253, v149 quad_perm:[1,1,1,1] row_mask:0xf bank_mask:0xf// 000000012390: 0BEB2AFA FF0055FD
	v_mul_f32_dpp v246, v253, v150 quad_perm:[2,2,2,2] row_mask:0xf bank_mask:0xf// 000000012398: 0BED2CFA FF00AAFD
	v_mul_f32_dpp v247, v253, v151 quad_perm:[3,3,3,3] row_mask:0xf bank_mask:0xf// 0000000123A0: 0BEF2EFA FF00FFFD
	v_mul_f32_dpp v248, v254, v152 quad_perm:[0,0,0,0] row_mask:0xf bank_mask:0xf// 0000000123A8: 0BF130FA FF0000FE
	v_mul_f32_dpp v249, v254, v153 quad_perm:[1,1,1,1] row_mask:0xf bank_mask:0xf// 0000000123B0: 0BF332FA FF0055FE
	v_mul_f32_dpp v250, v254, v154 quad_perm:[2,2,2,2] row_mask:0xf bank_mask:0xf// 0000000123B8: 0BF534FA FF00AAFE
	v_mul_f32_dpp v251, v254, v155 quad_perm:[3,3,3,3] row_mask:0xf bank_mask:0xf// 0000000123C0: 0BF736FA FF00FFFE
	v_mul_f32_dpp v252, v255, v156 quad_perm:[0,0,0,0] row_mask:0xf bank_mask:0xf// 0000000123C8: 0BF938FA FF0000FF
	v_mul_f32_dpp v253, v255, v157 quad_perm:[1,1,1,1] row_mask:0xf bank_mask:0xf// 0000000123D0: 0BFB3AFA FF0055FF
	v_mul_f32_dpp v254, v255, v158 quad_perm:[2,2,2,2] row_mask:0xf bank_mask:0xf// 0000000123D8: 0BFD3CFA FF00AAFF
	v_mul_f32_dpp v255, v255, v159 quad_perm:[3,3,3,3] row_mask:0xf bank_mask:0xf// 0000000123E0: 0BFF3EFA FF00FFFF
	v_mov_b32_e32 v62, 0x358637bd                              // 0000000123E8: 7E7C02FF 358637BD
	v_max3_f32 v62, |v240|, |v241|, v62                        // 0000000123F0: D1D3033E 04FBE3F0
	v_max3_f32 v62, |v242|, |v243|, v62                        // 0000000123F8: D1D3033E 04FBE7F2
	v_max3_f32 v62, |v244|, |v245|, v62                        // 000000012400: D1D3033E 04FBEBF4
	v_max3_f32 v62, |v246|, |v247|, v62                        // 000000012408: D1D3033E 04FBEFF6
	v_max3_f32 v62, |v248|, |v249|, v62                        // 000000012410: D1D3033E 04FBF3F8
	v_max3_f32 v62, |v250|, |v251|, v62                        // 000000012418: D1D3033E 04FBF7FA
	v_max3_f32 v62, |v252|, |v253|, v62                        // 000000012420: D1D3033E 04FBFBFC
	v_max3_f32 v62, |v254|, |v255|, v62                        // 000000012428: D1D3033E 04FBFFFE
	ds_write_b32 v11, v62 offset:20992                         // 000000012430: D81A5200 00003E0B
	v_sub_f32_e32 v64, v15, v18                                // 000000012438: 0480250F
	v_cndmask_b32_e64 v64, v64, 0, s[40:41]                    // 00000001243C: D1000040 00A10140
	v_mov_b32_e32 v15, v18                                     // 000000012444: 7E1E0312
	v_mul_f32_e32 v64, s64, v64                                // 000000012448: 0A808040
	v_exp_f32_e32 v64, v64                                     // 00000001244C: 7E804140
	s_waitcnt lgkmcnt(0)                                       // 000000012450: BF8CC07F
	s_barrier                                                  // 000000012454: BF8A0000
	ds_read_b32 v80, v10 offset:20992                          // 000000012458: D86C5200 5000000A
	ds_read_b32 v81, v10 offset:21056                          // 000000012460: D86C5240 5100000A
	ds_read_b32 v82, v10 offset:21120                          // 000000012468: D86C5280 5200000A
	ds_read_b32 v83, v10 offset:21184                          // 000000012470: D86C52C0 5300000A
	ds_read_b32 v84, v10 offset:21248                          // 000000012478: D86C5300 5400000A
	ds_read_b32 v85, v10 offset:21312                          // 000000012480: D86C5340 5500000A
	ds_read_b32 v86, v10 offset:21376                          // 000000012488: D86C5380 5600000A
	ds_read_b32 v87, v10 offset:21440                          // 000000012490: D86C53C0 5700000A
	ds_read_b32 v88, v10 offset:21504                          // 000000012498: D86C5400 5800000A
	ds_read_b32 v89, v10 offset:21568                          // 0000000124A0: D86C5440 5900000A
	ds_read_b32 v90, v10 offset:21632                          // 0000000124A8: D86C5480 5A00000A
	ds_read_b32 v91, v10 offset:21696                          // 0000000124B0: D86C54C0 5B00000A
	ds_read_b32 v92, v10 offset:21760                          // 0000000124B8: D86C5500 5C00000A
	ds_read_b32 v93, v10 offset:21824                          // 0000000124C0: D86C5540 5D00000A
	ds_read_b32 v94, v10 offset:21888                          // 0000000124C8: D86C5580 5E00000A
	ds_read_b32 v95, v10 offset:21952                          // 0000000124D0: D86C55C0 5F00000A
	v_mul_f32_e32 v48, v64, v48                                // 0000000124D8: 0A606140
	v_mov_b32_e32 v18, v144                                    // 0000000124DC: 7E240390
	v_add_f32_e32 v18, v145, v18                               // 0000000124E0: 02242591
	v_add_f32_e32 v18, v146, v18                               // 0000000124E4: 02242592
	v_add_f32_e32 v18, v147, v18                               // 0000000124E8: 02242593
	v_add_f32_e32 v18, v148, v18                               // 0000000124EC: 02242594
	v_add_f32_e32 v18, v149, v18                               // 0000000124F0: 02242595
	v_add_f32_e32 v18, v150, v18                               // 0000000124F4: 02242596
	v_add_f32_e32 v18, v151, v18                               // 0000000124F8: 02242597
	v_add_f32_e32 v18, v152, v18                               // 0000000124FC: 02242598
	v_add_f32_e32 v18, v153, v18                               // 000000012500: 02242599
	v_add_f32_e32 v18, v154, v18                               // 000000012504: 0224259A
	v_add_f32_e32 v18, v155, v18                               // 000000012508: 0224259B
	v_add_f32_e32 v18, v156, v18                               // 00000001250C: 0224259C
	v_add_f32_e32 v18, v157, v18                               // 000000012510: 0224259D
	v_add_f32_e32 v18, v158, v18                               // 000000012514: 0224259E
	v_add_f32_e32 v18, v159, v18                               // 000000012518: 0224259F
	v_add_f32_e32 v48, v18, v48                                // 00000001251C: 02606112
	s_waitcnt lgkmcnt(0)                                       // 000000012520: BF8CC07F
	v_max3_f32 v62, |v80|, |v81|, v62                          // 000000012524: D1D3033E 04FAA350
	v_max3_f32 v62, |v82|, |v83|, v62                          // 00000001252C: D1D3033E 04FAA752
	v_max3_f32 v62, |v84|, |v85|, v62                          // 000000012534: D1D3033E 04FAAB54
	v_max3_f32 v62, |v86|, |v87|, v62                          // 00000001253C: D1D3033E 04FAAF56
	v_max3_f32 v62, |v88|, |v89|, v62                          // 000000012544: D1D3033E 04FAB358
	v_max3_f32 v62, |v90|, |v91|, v62                          // 00000001254C: D1D3033E 04FAB75A
	v_max3_f32 v62, |v92|, |v93|, v62                          // 000000012554: D1D3033E 04FABB5C
	v_max3_f32 v62, |v94|, |v95|, v62                          // 00000001255C: D1D3033E 04FABF5E
	s_nop 2                                                    // 000000012564: BF800002
	v_rcp_f32_e32 v62, v62                                     // 000000012568: 7E7C453E
	s_nop 1                                                    // 00000001256C: BF800001
	v_mul_f32_e32 v62, 0x42fe0000, v62                         // 000000012570: 0A7C7CFF 42FE0000
	v_mul_f32_e32 v144, v62, v240                              // 000000012578: 0B21E13E
	v_mul_f32_e32 v145, v62, v241                              // 00000001257C: 0B23E33E
	v_mul_f32_e32 v146, v62, v242                              // 000000012580: 0B25E53E
	v_mul_f32_e32 v147, v62, v243                              // 000000012584: 0B27E73E
	v_mul_f32_e32 v148, v62, v244                              // 000000012588: 0B29E93E
	v_mul_f32_e32 v149, v62, v245                              // 00000001258C: 0B2BEB3E
	v_mul_f32_e32 v150, v62, v246                              // 000000012590: 0B2DED3E
	v_mul_f32_e32 v151, v62, v247                              // 000000012594: 0B2FEF3E
	v_mul_f32_e32 v152, v62, v248                              // 000000012598: 0B31F13E
	v_mul_f32_e32 v153, v62, v249                              // 00000001259C: 0B33F33E
	v_mul_f32_e32 v154, v62, v250                              // 0000000125A0: 0B35F53E
	v_mul_f32_e32 v155, v62, v251                              // 0000000125A4: 0B37F73E
	v_mul_f32_e32 v156, v62, v252                              // 0000000125A8: 0B39F93E
	v_mul_f32_e32 v157, v62, v253                              // 0000000125AC: 0B3BFB3E
	v_mul_f32_e32 v158, v62, v254                              // 0000000125B0: 0B3DFD3E
	v_mul_f32_e32 v159, v62, v255                              // 0000000125B4: 0B3FFF3E
	v_cvt_i32_f32_e32 v144, v144                               // 0000000125B8: 7F201190
	v_cvt_i32_f32_e32 v145, v145                               // 0000000125BC: 7F221191
	v_cvt_i32_f32_e32 v146, v146                               // 0000000125C0: 7F241192
	v_cvt_i32_f32_e32 v147, v147                               // 0000000125C4: 7F261193
	v_cvt_i32_f32_e32 v148, v148                               // 0000000125C8: 7F281194
	v_cvt_i32_f32_e32 v149, v149                               // 0000000125CC: 7F2A1195
	v_cvt_i32_f32_e32 v150, v150                               // 0000000125D0: 7F2C1196
	v_cvt_i32_f32_e32 v151, v151                               // 0000000125D4: 7F2E1197
	v_cvt_i32_f32_e32 v152, v152                               // 0000000125D8: 7F301198
	v_cvt_i32_f32_e32 v153, v153                               // 0000000125DC: 7F321199
	v_cvt_i32_f32_e32 v154, v154                               // 0000000125E0: 7F34119A
	v_cvt_i32_f32_e32 v155, v155                               // 0000000125E4: 7F36119B
	v_cvt_i32_f32_e32 v156, v156                               // 0000000125E8: 7F38119C
	v_cvt_i32_f32_e32 v157, v157                               // 0000000125EC: 7F3A119D
	v_cvt_i32_f32_e32 v158, v158                               // 0000000125F0: 7F3C119E
	v_cvt_i32_f32_e32 v159, v159                               // 0000000125F4: 7F3E119F
	v_perm_b32 v144, v145, v144, s53                           // 0000000125F8: D1ED0090 00D72191
	v_perm_b32 v144, v146, v144, s54                           // 000000012600: D1ED0090 00DB2192
	v_perm_b32 v144, v147, v144, s55                           // 000000012608: D1ED0090 00DF2193
	v_perm_b32 v145, v149, v148, s53                           // 000000012610: D1ED0091 00D72995
	v_perm_b32 v145, v150, v145, s54                           // 000000012618: D1ED0091 00DB2396
	v_perm_b32 v145, v151, v145, s55                           // 000000012620: D1ED0091 00DF2397
	v_perm_b32 v146, v153, v152, s53                           // 000000012628: D1ED0092 00D73199
	v_perm_b32 v146, v154, v146, s54                           // 000000012630: D1ED0092 00DB259A
	v_perm_b32 v146, v155, v146, s55                           // 000000012638: D1ED0092 00DF259B
	v_perm_b32 v147, v157, v156, s53                           // 000000012640: D1ED0093 00D7399D
	v_perm_b32 v147, v158, v147, s54                           // 000000012648: D1ED0093 00DB279E
	v_perm_b32 v147, v159, v147, s55                           // 000000012650: D1ED0093 00DF279F
	ds_write_b32 v13, v144 offset:29184                        // 000000012658: D81A7200 0000900D
	ds_write_b32 v13, v145 offset:30208                        // 000000012660: D81A7600 0000910D
	ds_write_b32 v13, v146 offset:31232                        // 000000012668: D81A7A00 0000920D
	ds_write_b32 v13, v147 offset:32256                        // 000000012670: D81A7E00 0000930D
	v_add_f32_e32 v232, v232, v200                             // 000000012678: 03D191E8
	v_add_f32_e32 v233, v233, v201                             // 00000001267C: 03D393E9
	v_add_f32_e32 v234, v234, v202                             // 000000012680: 03D595EA
	v_add_f32_e32 v235, v235, v203                             // 000000012684: 03D797EB
	v_add_f32_e32 v236, v236, v204                             // 000000012688: 03D999EC
	v_add_f32_e32 v237, v237, v205                             // 00000001268C: 03DB9BED
	v_add_f32_e32 v238, v238, v206                             // 000000012690: 03DD9DEE
	v_add_f32_e32 v239, v239, v207                             // 000000012694: 03DF9FEF
	v_rcp_f32_e32 v59, v62                                     // 000000012698: 7E76453E
	s_waitcnt lgkmcnt(0)                                       // 00000001269C: BF8CC07F
	s_barrier                                                  // 0000000126A0: BF8A0000
	ds_read_b64 v[144:145], v12 offset:29184                   // 0000000126A4: D8EC7200 9000000C
	ds_read_b64 v[146:147], v12 offset:29312                   // 0000000126AC: D8EC7280 9200000C
	ds_read_b64 v[148:149], v12 offset:30208                   // 0000000126B4: D8EC7600 9400000C
	ds_read_b64 v[150:151], v12 offset:30336                   // 0000000126BC: D8EC7680 9600000C
	ds_read_b64 v[152:153], v12 offset:31232                   // 0000000126C4: D8EC7A00 9800000C
	ds_read_b64 v[154:155], v12 offset:31360                   // 0000000126CC: D8EC7A80 9A00000C
	ds_read_b64 v[156:157], v12 offset:32256                   // 0000000126D4: D8EC7E00 9C00000C
	ds_read_b64 v[158:159], v12 offset:32384                   // 0000000126DC: D8EC7E80 9E00000C
	s_waitcnt vmcnt(0)                                         // 0000000126E4: BF8C0F70
	s_barrier                                                  // 0000000126E8: BF8A0000
	v_mfma_i32_16x16x32_i8 v[192:195], a[64:65], v[128:129], 0 // 0000000126EC: D3D700C0 0A030140
	v_mfma_i32_16x16x32_i8 v[192:195], a[66:67], v[130:131], v[192:195]// 0000000126F4: D3D700C0 0F030542
	v_mfma_i32_16x16x32_i8 v[192:195], a[68:69], v[132:133], v[192:195]// 0000000126FC: D3D700C0 0F030944
	v_mfma_i32_16x16x32_i8 v[192:195], a[70:71], v[134:135], v[192:195]// 000000012704: D3D700C0 0F030D46
	v_mfma_i32_16x16x32_i8 v[192:195], a[72:73], v[136:137], v[192:195]// 00000001270C: D3D700C0 0F031148
	v_mfma_i32_16x16x32_i8 v[192:195], a[74:75], v[138:139], v[192:195]// 000000012714: D3D700C0 0F03154A
	v_mfma_i32_16x16x32_i8 v[192:195], a[76:77], v[140:141], v[192:195]// 00000001271C: D3D700C0 0F03194C
	v_mfma_i32_16x16x32_i8 v[192:195], a[78:79], v[142:143], v[192:195]// 000000012724: D3D700C0 0F031D4E
	v_mfma_i32_16x16x32_i8 v[196:199], a[80:81], v[128:129], 0 // 00000001272C: D3D700C4 0A030150
	v_mfma_i32_16x16x32_i8 v[196:199], a[82:83], v[130:131], v[196:199]// 000000012734: D3D700C4 0F130552
	v_mfma_i32_16x16x32_i8 v[196:199], a[84:85], v[132:133], v[196:199]// 00000001273C: D3D700C4 0F130954
	v_mfma_i32_16x16x32_i8 v[196:199], a[86:87], v[134:135], v[196:199]// 000000012744: D3D700C4 0F130D56
	v_mfma_i32_16x16x32_i8 v[196:199], a[88:89], v[136:137], v[196:199]// 00000001274C: D3D700C4 0F131158
	v_mfma_i32_16x16x32_i8 v[196:199], a[90:91], v[138:139], v[196:199]// 000000012754: D3D700C4 0F13155A
	v_mfma_i32_16x16x32_i8 v[196:199], a[92:93], v[140:141], v[196:199]// 00000001275C: D3D700C4 0F13195C
	v_mfma_i32_16x16x32_i8 v[196:199], a[94:95], v[142:143], v[196:199]// 000000012764: D3D700C4 0F131D5E
	v_mfma_i32_16x16x32_i8 v[200:203], a[64:65], v[144:145], 0 // 00000001276C: D3D700C8 0A032140
	v_mfma_i32_16x16x32_i8 v[200:203], a[66:67], v[146:147], v[200:203]// 000000012774: D3D700C8 0F232542
	v_mfma_i32_16x16x32_i8 v[200:203], a[68:69], v[148:149], v[200:203]// 00000001277C: D3D700C8 0F232944
	v_mfma_i32_16x16x32_i8 v[200:203], a[70:71], v[150:151], v[200:203]// 000000012784: D3D700C8 0F232D46
	v_mfma_i32_16x16x32_i8 v[200:203], a[72:73], v[152:153], v[200:203]// 00000001278C: D3D700C8 0F233148
	v_mfma_i32_16x16x32_i8 v[200:203], a[74:75], v[154:155], v[200:203]// 000000012794: D3D700C8 0F23354A
	v_mfma_i32_16x16x32_i8 v[200:203], a[76:77], v[156:157], v[200:203]// 00000001279C: D3D700C8 0F23394C
	v_mfma_i32_16x16x32_i8 v[200:203], a[78:79], v[158:159], v[200:203]// 0000000127A4: D3D700C8 0F233D4E
	v_mfma_i32_16x16x32_i8 v[204:207], a[80:81], v[144:145], 0 // 0000000127AC: D3D700CC 0A032150
	v_mfma_i32_16x16x32_i8 v[204:207], a[82:83], v[146:147], v[204:207]// 0000000127B4: D3D700CC 0F332552
	v_mfma_i32_16x16x32_i8 v[204:207], a[84:85], v[148:149], v[204:207]// 0000000127BC: D3D700CC 0F332954
	v_mfma_i32_16x16x32_i8 v[204:207], a[86:87], v[150:151], v[204:207]// 0000000127C4: D3D700CC 0F332D56
	v_mfma_i32_16x16x32_i8 v[204:207], a[88:89], v[152:153], v[204:207]// 0000000127CC: D3D700CC 0F333158
	v_mfma_i32_16x16x32_i8 v[204:207], a[90:91], v[154:155], v[204:207]// 0000000127D4: D3D700CC 0F33355A
	v_mfma_i32_16x16x32_i8 v[204:207], a[92:93], v[156:157], v[204:207]// 0000000127DC: D3D700CC 0F33395C
	v_mfma_i32_16x16x32_i8 v[204:207], a[94:95], v[158:159], v[204:207]// 0000000127E4: D3D700CC 0F333D5E
	s_nop 4                                                    // 0000000127EC: BF800004
	s_branch label_47A2                                        // 0000000127F0: BF820625

00000000000127f4 <label_417D>:
	s_waitcnt vmcnt(8) lgkmcnt(0)                              // 0000000127F4: BF8C0078
	s_barrier                                                  // 0000000127F8: BF8A0000
	v_mfma_i32_16x16x32_i8 v[128:131], a[32:33], v[96:97], 0   // 0000000127FC: D3D70080 0A02C120
	v_mfma_i32_16x16x32_i8 v[128:131], a[34:35], v[98:99], v[128:131]// 000000012804: D3D70080 0E02C522
	v_mfma_i32_16x16x32_i8 v[128:131], a[36:37], v[100:101], v[128:131]// 00000001280C: D3D70080 0E02C924
	v_mfma_i32_16x16x32_i8 v[128:131], a[38:39], v[102:103], v[128:131]// 000000012814: D3D70080 0E02CD26
	v_mfma_i32_16x16x32_i8 v[132:135], a[40:41], v[96:97], 0   // 00000001281C: D3D70084 0A02C128
	v_mfma_i32_16x16x32_i8 v[132:135], a[42:43], v[98:99], v[132:135]// 000000012824: D3D70084 0E12C52A
	v_mfma_i32_16x16x32_i8 v[132:135], a[44:45], v[100:101], v[132:135]// 00000001282C: D3D70084 0E12C92C
	v_mfma_i32_16x16x32_i8 v[132:135], a[46:47], v[102:103], v[132:135]// 000000012834: D3D70084 0E12CD2E
	v_mfma_i32_16x16x32_i8 v[136:139], a[48:49], v[96:97], 0   // 00000001283C: D3D70088 0A02C130
	v_mfma_i32_16x16x32_i8 v[136:139], a[50:51], v[98:99], v[136:139]// 000000012844: D3D70088 0E22C532
	v_mfma_i32_16x16x32_i8 v[136:139], a[52:53], v[100:101], v[136:139]// 00000001284C: D3D70088 0E22C934
	v_mfma_i32_16x16x32_i8 v[136:139], a[54:55], v[102:103], v[136:139]// 000000012854: D3D70088 0E22CD36
	v_mfma_i32_16x16x32_i8 v[140:143], a[56:57], v[96:97], 0   // 00000001285C: D3D7008C 0A02C138
	v_mfma_i32_16x16x32_i8 v[140:143], a[58:59], v[98:99], v[140:143]// 000000012864: D3D7008C 0E32C53A
	v_mfma_i32_16x16x32_i8 v[140:143], a[60:61], v[100:101], v[140:143]// 00000001286C: D3D7008C 0E32C93C
	v_mfma_i32_16x16x32_i8 v[140:143], a[62:63], v[102:103], v[140:143]// 000000012874: D3D7008C 0E32CD3E
	v_mfma_i32_16x16x32_i8 v[144:147], a[32:33], v[104:105], 0 // 00000001287C: D3D70090 0A02D120
	v_mfma_i32_16x16x32_i8 v[144:147], a[34:35], v[106:107], v[144:147]// 000000012884: D3D70090 0E42D522
	v_mfma_i32_16x16x32_i8 v[144:147], a[36:37], v[108:109], v[144:147]// 00000001288C: D3D70090 0E42D924
	v_mfma_i32_16x16x32_i8 v[144:147], a[38:39], v[110:111], v[144:147]// 000000012894: D3D70090 0E42DD26
	v_mfma_i32_16x16x32_i8 v[148:151], a[40:41], v[104:105], 0 // 00000001289C: D3D70094 0A02D128
	v_mfma_i32_16x16x32_i8 v[148:151], a[42:43], v[106:107], v[148:151]// 0000000128A4: D3D70094 0E52D52A
	v_mfma_i32_16x16x32_i8 v[148:151], a[44:45], v[108:109], v[148:151]// 0000000128AC: D3D70094 0E52D92C
	v_mfma_i32_16x16x32_i8 v[148:151], a[46:47], v[110:111], v[148:151]// 0000000128B4: D3D70094 0E52DD2E
	v_mfma_i32_16x16x32_i8 v[152:155], a[48:49], v[104:105], 0 // 0000000128BC: D3D70098 0A02D130
	v_mfma_i32_16x16x32_i8 v[152:155], a[50:51], v[106:107], v[152:155]// 0000000128C4: D3D70098 0E62D532
	v_mfma_i32_16x16x32_i8 v[152:155], a[52:53], v[108:109], v[152:155]// 0000000128CC: D3D70098 0E62D934
	v_mfma_i32_16x16x32_i8 v[152:155], a[54:55], v[110:111], v[152:155]// 0000000128D4: D3D70098 0E62DD36
	v_mfma_i32_16x16x32_i8 v[156:159], a[56:57], v[104:105], 0 // 0000000128DC: D3D7009C 0A02D138
	v_mfma_i32_16x16x32_i8 v[156:159], a[58:59], v[106:107], v[156:159]// 0000000128E4: D3D7009C 0E72D53A
	v_mfma_i32_16x16x32_i8 v[156:159], a[60:61], v[108:109], v[156:159]// 0000000128EC: D3D7009C 0E72D93C
	v_mfma_i32_16x16x32_i8 v[156:159], a[62:63], v[110:111], v[156:159]// 0000000128F4: D3D7009C 0E72DD3E
	v_mov_b32_dpp v41, v53 row_shr:4 row_mask:0xf bank_mask:0xf// 0000000128FC: 7E5202FA FF011435
	v_mov_b32_dpp v42, v53 row_shl:4 row_mask:0xf bank_mask:0xf// 000000012904: 7E5402FA FF010435
	v_cndmask_b32_e64 v248, v53, v41, s[44:45]                 // 00000001290C: D10000F8 00B25335
	v_cndmask_b32_e64 v249, v42, v53, s[44:45]                 // 000000012914: D10000F9 00B26B2A
	v_mov_b32_dpp v41, v248 row_shr:8 row_mask:0xf bank_mask:0xf// 00000001291C: 7E5202FA FF0118F8
	v_mov_b32_dpp v42, v248 row_shl:8 row_mask:0xf bank_mask:0xf// 000000012924: 7E5402FA FF0108F8
	v_mov_b32_dpp v43, v249 row_shr:8 row_mask:0xf bank_mask:0xf// 00000001292C: 7E5602FA FF0118F9
	v_mov_b32_dpp v44, v249 row_shl:8 row_mask:0xf bank_mask:0xf// 000000012934: 7E5802FA FF0108F9
	v_mov_b32_e32 v45, v248                                    // 00000001293C: 7E5A03F8
	v_mov_b32_e32 v46, v249                                    // 000000012940: 7E5C03F9
	v_cndmask_b32_e64 v248, v45, v41, s[42:43]                 // 000000012944: D10000F8 00AA532D
	v_cndmask_b32_e64 v250, v45, v42, s[78:79]                 // 00000001294C: D10000FA 013A552D
	v_cndmask_b32_e64 v249, v46, v43, s[42:43]                 // 000000012954: D10000F9 00AA572E
	v_cndmask_b32_e64 v251, v46, v44, s[78:79]                 // 00000001295C: D10000FB 013A592E
	v_mov_b32_dpp v41, v73 row_shr:4 row_mask:0xf bank_mask:0xf// 000000012964: 7E5202FA FF011449
	v_mov_b32_dpp v42, v73 row_shl:4 row_mask:0xf bank_mask:0xf// 00000001296C: 7E5402FA FF010449
	v_cndmask_b32_e64 v252, v73, v41, s[44:45]                 // 000000012974: D10000FC 00B25349
	v_cndmask_b32_e64 v253, v42, v73, s[44:45]                 // 00000001297C: D10000FD 00B2932A
	v_mov_b32_dpp v41, v252 row_shr:8 row_mask:0xf bank_mask:0xf// 000000012984: 7E5202FA FF0118FC
	v_mov_b32_dpp v42, v252 row_shl:8 row_mask:0xf bank_mask:0xf// 00000001298C: 7E5402FA FF0108FC
	v_mov_b32_dpp v43, v253 row_shr:8 row_mask:0xf bank_mask:0xf// 000000012994: 7E5602FA FF0118FD
	v_mov_b32_dpp v44, v253 row_shl:8 row_mask:0xf bank_mask:0xf// 00000001299C: 7E5802FA FF0108FD
	v_mov_b32_e32 v45, v252                                    // 0000000129A4: 7E5A03FC
	v_mov_b32_e32 v46, v253                                    // 0000000129A8: 7E5C03FD
	v_cndmask_b32_e64 v252, v45, v41, s[42:43]                 // 0000000129AC: D10000FC 00AA532D
	v_cndmask_b32_e64 v254, v45, v42, s[78:79]                 // 0000000129B4: D10000FE 013A552D
	v_cndmask_b32_e64 v253, v46, v43, s[42:43]                 // 0000000129BC: D10000FD 00AA572E
	v_cndmask_b32_e64 v255, v46, v44, s[78:79]                 // 0000000129C4: D10000FF 013A592E
	v_cvt_f32_i32_e32 v128, v128                               // 0000000129CC: 7F000B80
	v_cvt_f32_i32_e32 v129, v129                               // 0000000129D0: 7F020B81
	v_cvt_f32_i32_e32 v130, v130                               // 0000000129D4: 7F040B82
	v_cvt_f32_i32_e32 v131, v131                               // 0000000129D8: 7F060B83
	v_cvt_f32_i32_e32 v132, v132                               // 0000000129DC: 7F080B84
	v_cvt_f32_i32_e32 v133, v133                               // 0000000129E0: 7F0A0B85
	v_cvt_f32_i32_e32 v134, v134                               // 0000000129E4: 7F0C0B86
	v_cvt_f32_i32_e32 v135, v135                               // 0000000129E8: 7F0E0B87
	v_cvt_f32_i32_e32 v136, v136                               // 0000000129EC: 7F100B88
	v_cvt_f32_i32_e32 v137, v137                               // 0000000129F0: 7F120B89
	v_cvt_f32_i32_e32 v138, v138                               // 0000000129F4: 7F140B8A
	v_cvt_f32_i32_e32 v139, v139                               // 0000000129F8: 7F160B8B
	v_cvt_f32_i32_e32 v140, v140                               // 0000000129FC: 7F180B8C
	v_cvt_f32_i32_e32 v141, v141                               // 000000012A00: 7F1A0B8D
	v_cvt_f32_i32_e32 v142, v142                               // 000000012A04: 7F1C0B8E
	v_cvt_f32_i32_e32 v143, v143                               // 000000012A08: 7F1E0B8F
	v_mul_f32_e32 v128, v54, v128                              // 000000012A0C: 0B010136
	v_mul_f32_e32 v129, v54, v129                              // 000000012A10: 0B030336
	v_mul_f32_e32 v130, v54, v130                              // 000000012A14: 0B050536
	v_mul_f32_e32 v131, v54, v131                              // 000000012A18: 0B070736
	v_mul_f32_e32 v132, v54, v132                              // 000000012A1C: 0B090936
	v_mul_f32_e32 v133, v54, v133                              // 000000012A20: 0B0B0B36
	v_mul_f32_e32 v134, v54, v134                              // 000000012A24: 0B0D0D36
	v_mul_f32_e32 v135, v54, v135                              // 000000012A28: 0B0F0F36
	v_mul_f32_e32 v136, v54, v136                              // 000000012A2C: 0B111136
	v_mul_f32_e32 v137, v54, v137                              // 000000012A30: 0B131336
	v_mul_f32_e32 v138, v54, v138                              // 000000012A34: 0B151536
	v_mul_f32_e32 v139, v54, v139                              // 000000012A38: 0B171736
	v_mul_f32_e32 v140, v54, v140                              // 000000012A3C: 0B191936
	v_mul_f32_e32 v141, v54, v141                              // 000000012A40: 0B1B1B36
	v_mul_f32_e32 v142, v54, v142                              // 000000012A44: 0B1D1D36
	v_mul_f32_e32 v143, v54, v143                              // 000000012A48: 0B1F1F36
	v_mul_f32_dpp v128, v248, v128 quad_perm:[0,0,0,0] row_mask:0xf bank_mask:0xf// 000000012A4C: 0B0100FA FF0000F8
	v_mul_f32_dpp v129, v248, v129 quad_perm:[1,1,1,1] row_mask:0xf bank_mask:0xf// 000000012A54: 0B0302FA FF0055F8
	v_mul_f32_dpp v130, v248, v130 quad_perm:[2,2,2,2] row_mask:0xf bank_mask:0xf// 000000012A5C: 0B0504FA FF00AAF8
	v_mul_f32_dpp v131, v248, v131 quad_perm:[3,3,3,3] row_mask:0xf bank_mask:0xf// 000000012A64: 0B0706FA FF00FFF8
	v_mul_f32_dpp v132, v249, v132 quad_perm:[0,0,0,0] row_mask:0xf bank_mask:0xf// 000000012A6C: 0B0908FA FF0000F9
	v_mul_f32_dpp v133, v249, v133 quad_perm:[1,1,1,1] row_mask:0xf bank_mask:0xf// 000000012A74: 0B0B0AFA FF0055F9
	v_mul_f32_dpp v134, v249, v134 quad_perm:[2,2,2,2] row_mask:0xf bank_mask:0xf// 000000012A7C: 0B0D0CFA FF00AAF9
	v_mul_f32_dpp v135, v249, v135 quad_perm:[3,3,3,3] row_mask:0xf bank_mask:0xf// 000000012A84: 0B0F0EFA FF00FFF9
	v_mul_f32_dpp v136, v250, v136 quad_perm:[0,0,0,0] row_mask:0xf bank_mask:0xf// 000000012A8C: 0B1110FA FF0000FA
	v_mul_f32_dpp v137, v250, v137 quad_perm:[1,1,1,1] row_mask:0xf bank_mask:0xf// 000000012A94: 0B1312FA FF0055FA
	v_mul_f32_dpp v138, v250, v138 quad_perm:[2,2,2,2] row_mask:0xf bank_mask:0xf// 000000012A9C: 0B1514FA FF00AAFA
	v_mul_f32_dpp v139, v250, v139 quad_perm:[3,3,3,3] row_mask:0xf bank_mask:0xf// 000000012AA4: 0B1716FA FF00FFFA
	v_mul_f32_dpp v140, v251, v140 quad_perm:[0,0,0,0] row_mask:0xf bank_mask:0xf// 000000012AAC: 0B1918FA FF0000FB
	v_mul_f32_dpp v141, v251, v141 quad_perm:[1,1,1,1] row_mask:0xf bank_mask:0xf// 000000012AB4: 0B1B1AFA FF0055FB
	v_mul_f32_dpp v142, v251, v142 quad_perm:[2,2,2,2] row_mask:0xf bank_mask:0xf// 000000012ABC: 0B1D1CFA FF00AAFB
	v_mul_f32_dpp v143, v251, v143 quad_perm:[3,3,3,3] row_mask:0xf bank_mask:0xf// 000000012AC4: 0B1F1EFA FF00FFFB
	s_cmp_le_i32 s90, s89                                      // 000000012ACC: BF05595A
	s_cbranch_scc1 label_42A8                                  // 000000012AD0: BF850073
	v_mov_b32_e32 v69, 0xff800000                              // 000000012AD4: 7E8A02FF FF800000
	s_mov_b32 s60, s90                                         // 000000012ADC: BEBC005A
	s_add_u32 s61, s89, 0xff                                   // 000000012AE0: 803DFF59 000000FF
	v_mov_b32_e32 v41, s61                                     // 000000012AE8: 7E52023D
	v_lshrrev_b32_e32 v240, 4, v0                              // 000000012AEC: 21E00084
	v_mul_i32_i24_e32 v240, 4, v240                            // 000000012AF0: 0DE1E084
	v_add_u32_e32 v240, s60, v240                              // 000000012AF4: 69E1E03C
	v_and_b32_e32 v42, 15, v0                                  // 000000012AF8: 2654008F
	v_lshrrev_b32_e32 v42, 3, v42                              // 000000012AFC: 20545483
	s_mov_b32 s61, 0                                           // 000000012B00: BEBD0080
	s_mul_i32 s60, 16, s7                                      // 000000012B04: 923C0790
	v_add_u32_e32 v42, s61, v42                                // 000000012B08: 6854543D
	v_sub_u32_e32 v240, v240, v42                              // 000000012B0C: 6BE055F0
	v_add_u32_e32 v240, s60, v240                              // 000000012B10: 69E1E03C
	v_add_u32_e32 v241, 1, v240                                // 000000012B14: 69E3E081
	v_add_u32_e32 v242, 2, v240                                // 000000012B18: 69E5E082
	v_add_u32_e32 v243, 3, v240                                // 000000012B1C: 69E7E083
	v_cmp_le_u32_e64 s[40:41], v240, v41                       // 000000012B20: D0CB0028 000253F0
	v_add_u32_e32 v240, 64, v240                               // 000000012B28: 69E1E0C0
	s_nop 0                                                    // 000000012B2C: BF800000
	v_cndmask_b32_e64 v128, v69, v128, s[40:41]                // 000000012B30: D1000080 00A30145
	v_cmp_le_u32_e64 s[40:41], v241, v41                       // 000000012B38: D0CB0028 000253F1
	v_add_u32_e32 v241, 64, v241                               // 000000012B40: 69E3E2C0
	s_nop 0                                                    // 000000012B44: BF800000
	v_cndmask_b32_e64 v129, v69, v129, s[40:41]                // 000000012B48: D1000081 00A30345
	v_cmp_le_u32_e64 s[40:41], v242, v41                       // 000000012B50: D0CB0028 000253F2
	v_add_u32_e32 v242, 64, v242                               // 000000012B58: 69E5E4C0
	s_nop 0                                                    // 000000012B5C: BF800000
	v_cndmask_b32_e64 v130, v69, v130, s[40:41]                // 000000012B60: D1000082 00A30545
	v_cmp_le_u32_e64 s[40:41], v243, v41                       // 000000012B68: D0CB0028 000253F3
	v_add_u32_e32 v243, 64, v243                               // 000000012B70: 69E7E6C0
	s_nop 0                                                    // 000000012B74: BF800000
	v_cndmask_b32_e64 v131, v69, v131, s[40:41]                // 000000012B78: D1000083 00A30745
	v_cmp_le_u32_e64 s[40:41], v240, v41                       // 000000012B80: D0CB0028 000253F0
	v_add_u32_e32 v240, 64, v240                               // 000000012B88: 69E1E0C0
	s_nop 0                                                    // 000000012B8C: BF800000
	v_cndmask_b32_e64 v132, v69, v132, s[40:41]                // 000000012B90: D1000084 00A30945
	v_cmp_le_u32_e64 s[40:41], v241, v41                       // 000000012B98: D0CB0028 000253F1
	v_add_u32_e32 v241, 64, v241                               // 000000012BA0: 69E3E2C0
	s_nop 0                                                    // 000000012BA4: BF800000
	v_cndmask_b32_e64 v133, v69, v133, s[40:41]                // 000000012BA8: D1000085 00A30B45
	v_cmp_le_u32_e64 s[40:41], v242, v41                       // 000000012BB0: D0CB0028 000253F2
	v_add_u32_e32 v242, 64, v242                               // 000000012BB8: 69E5E4C0
	s_nop 0                                                    // 000000012BBC: BF800000
	v_cndmask_b32_e64 v134, v69, v134, s[40:41]                // 000000012BC0: D1000086 00A30D45
	v_cmp_le_u32_e64 s[40:41], v243, v41                       // 000000012BC8: D0CB0028 000253F3
	v_add_u32_e32 v243, 64, v243                               // 000000012BD0: 69E7E6C0
	s_nop 0                                                    // 000000012BD4: BF800000
	v_cndmask_b32_e64 v135, v69, v135, s[40:41]                // 000000012BD8: D1000087 00A30F45
	v_cmp_le_u32_e64 s[40:41], v240, v41                       // 000000012BE0: D0CB0028 000253F0
	v_add_u32_e32 v240, 64, v240                               // 000000012BE8: 69E1E0C0
	s_nop 0                                                    // 000000012BEC: BF800000
	v_cndmask_b32_e64 v136, v69, v136, s[40:41]                // 000000012BF0: D1000088 00A31145
	v_cmp_le_u32_e64 s[40:41], v241, v41                       // 000000012BF8: D0CB0028 000253F1
	v_add_u32_e32 v241, 64, v241                               // 000000012C00: 69E3E2C0
	s_nop 0                                                    // 000000012C04: BF800000
	v_cndmask_b32_e64 v137, v69, v137, s[40:41]                // 000000012C08: D1000089 00A31345
	v_cmp_le_u32_e64 s[40:41], v242, v41                       // 000000012C10: D0CB0028 000253F2
	v_add_u32_e32 v242, 64, v242                               // 000000012C18: 69E5E4C0
	s_nop 0                                                    // 000000012C1C: BF800000
	v_cndmask_b32_e64 v138, v69, v138, s[40:41]                // 000000012C20: D100008A 00A31545
	v_cmp_le_u32_e64 s[40:41], v243, v41                       // 000000012C28: D0CB0028 000253F3
	v_add_u32_e32 v243, 64, v243                               // 000000012C30: 69E7E6C0
	s_nop 0                                                    // 000000012C34: BF800000
	v_cndmask_b32_e64 v139, v69, v139, s[40:41]                // 000000012C38: D100008B 00A31745
	v_cmp_le_u32_e64 s[40:41], v240, v41                       // 000000012C40: D0CB0028 000253F0
	v_add_u32_e32 v240, 64, v240                               // 000000012C48: 69E1E0C0
	s_nop 0                                                    // 000000012C4C: BF800000
	v_cndmask_b32_e64 v140, v69, v140, s[40:41]                // 000000012C50: D100008C 00A31945
	v_cmp_le_u32_e64 s[40:41], v241, v41                       // 000000012C58: D0CB0028 000253F1
	v_add_u32_e32 v241, 64, v241                               // 000000012C60: 69E3E2C0
	s_nop 0                                                    // 000000012C64: BF800000
	v_cndmask_b32_e64 v141, v69, v141, s[40:41]                // 000000012C68: D100008D 00A31B45
	v_cmp_le_u32_e64 s[40:41], v242, v41                       // 000000012C70: D0CB0028 000253F2
	v_add_u32_e32 v242, 64, v242                               // 000000012C78: 69E5E4C0
	s_nop 0                                                    // 000000012C7C: BF800000
	v_cndmask_b32_e64 v142, v69, v142, s[40:41]                // 000000012C80: D100008E 00A31D45
	v_cmp_le_u32_e64 s[40:41], v243, v41                       // 000000012C88: D0CB0028 000253F3
	v_add_u32_e32 v243, 64, v243                               // 000000012C90: 69E7E6C0
	s_nop 0                                                    // 000000012C94: BF800000
	v_cndmask_b32_e64 v143, v69, v143, s[40:41]                // 000000012C98: D100008F 00A31F45

0000000000012ca0 <label_42A8>:
	s_and_b32 s60, s72, 0xff                                   // 000000012CA0: 863CFF48 000000FF
	v_mov_b32_e32 v42, s60                                     // 000000012CA8: 7E54023C
	v_lshrrev_b32_e32 v240, 4, v0                              // 000000012CAC: 21E00084
	v_mul_i32_i24_e32 v240, 4, v240                            // 000000012CB0: 0DE1E084
	s_mul_i32 s60, s7, 16                                      // 000000012CB4: 923C9007
	v_add_u32_e32 v240, s60, v240                              // 000000012CB8: 69E1E03C
	v_add_u32_e32 v241, 1, v240                                // 000000012CBC: 69E3E081
	v_add_u32_e32 v242, 2, v240                                // 000000012CC0: 69E5E082
	v_add_u32_e32 v243, 3, v240                                // 000000012CC4: 69E7E083
	v_mov_b32_e32 v41, 0xff800000                              // 000000012CC8: 7E5202FF FF800000
	v_cmp_lt_u32_e64 s[40:41], v240, v42                       // 000000012CD0: D0C90028 000255F0
	v_add_u32_e32 v240, 64, v240                               // 000000012CD8: 69E1E0C0
	s_nop 0                                                    // 000000012CDC: BF800000
	v_cndmask_b32_e64 v128, v41, v128, s[40:41]                // 000000012CE0: D1000080 00A30129
	v_cmp_lt_u32_e64 s[40:41], v241, v42                       // 000000012CE8: D0C90028 000255F1
	v_add_u32_e32 v241, 64, v241                               // 000000012CF0: 69E3E2C0
	s_nop 0                                                    // 000000012CF4: BF800000
	v_cndmask_b32_e64 v129, v41, v129, s[40:41]                // 000000012CF8: D1000081 00A30329
	v_cmp_lt_u32_e64 s[40:41], v242, v42                       // 000000012D00: D0C90028 000255F2
	v_add_u32_e32 v242, 64, v242                               // 000000012D08: 69E5E4C0
	s_nop 0                                                    // 000000012D0C: BF800000
	v_cndmask_b32_e64 v130, v41, v130, s[40:41]                // 000000012D10: D1000082 00A30529
	v_cmp_lt_u32_e64 s[40:41], v243, v42                       // 000000012D18: D0C90028 000255F3
	v_add_u32_e32 v243, 64, v243                               // 000000012D20: 69E7E6C0
	s_nop 0                                                    // 000000012D24: BF800000
	v_cndmask_b32_e64 v131, v41, v131, s[40:41]                // 000000012D28: D1000083 00A30729
	v_cmp_lt_u32_e64 s[40:41], v240, v42                       // 000000012D30: D0C90028 000255F0
	v_add_u32_e32 v240, 64, v240                               // 000000012D38: 69E1E0C0
	s_nop 0                                                    // 000000012D3C: BF800000
	v_cndmask_b32_e64 v132, v41, v132, s[40:41]                // 000000012D40: D1000084 00A30929
	v_cmp_lt_u32_e64 s[40:41], v241, v42                       // 000000012D48: D0C90028 000255F1
	v_add_u32_e32 v241, 64, v241                               // 000000012D50: 69E3E2C0
	s_nop 0                                                    // 000000012D54: BF800000
	v_cndmask_b32_e64 v133, v41, v133, s[40:41]                // 000000012D58: D1000085 00A30B29
	v_cmp_lt_u32_e64 s[40:41], v242, v42                       // 000000012D60: D0C90028 000255F2
	v_add_u32_e32 v242, 64, v242                               // 000000012D68: 69E5E4C0
	s_nop 0                                                    // 000000012D6C: BF800000
	v_cndmask_b32_e64 v134, v41, v134, s[40:41]                // 000000012D70: D1000086 00A30D29
	v_cmp_lt_u32_e64 s[40:41], v243, v42                       // 000000012D78: D0C90028 000255F3
	v_add_u32_e32 v243, 64, v243                               // 000000012D80: 69E7E6C0
	s_nop 0                                                    // 000000012D84: BF800000
	v_cndmask_b32_e64 v135, v41, v135, s[40:41]                // 000000012D88: D1000087 00A30F29
	v_cmp_lt_u32_e64 s[40:41], v240, v42                       // 000000012D90: D0C90028 000255F0
	v_add_u32_e32 v240, 64, v240                               // 000000012D98: 69E1E0C0
	s_nop 0                                                    // 000000012D9C: BF800000
	v_cndmask_b32_e64 v136, v41, v136, s[40:41]                // 000000012DA0: D1000088 00A31129
	v_cmp_lt_u32_e64 s[40:41], v241, v42                       // 000000012DA8: D0C90028 000255F1
	v_add_u32_e32 v241, 64, v241                               // 000000012DB0: 69E3E2C0
	s_nop 0                                                    // 000000012DB4: BF800000
	v_cndmask_b32_e64 v137, v41, v137, s[40:41]                // 000000012DB8: D1000089 00A31329
	v_cmp_lt_u32_e64 s[40:41], v242, v42                       // 000000012DC0: D0C90028 000255F2
	v_add_u32_e32 v242, 64, v242                               // 000000012DC8: 69E5E4C0
	s_nop 0                                                    // 000000012DCC: BF800000
	v_cndmask_b32_e64 v138, v41, v138, s[40:41]                // 000000012DD0: D100008A 00A31529
	v_cmp_lt_u32_e64 s[40:41], v243, v42                       // 000000012DD8: D0C90028 000255F3
	v_add_u32_e32 v243, 64, v243                               // 000000012DE0: 69E7E6C0
	s_nop 0                                                    // 000000012DE4: BF800000
	v_cndmask_b32_e64 v139, v41, v139, s[40:41]                // 000000012DE8: D100008B 00A31729
	v_cmp_lt_u32_e64 s[40:41], v240, v42                       // 000000012DF0: D0C90028 000255F0
	v_add_u32_e32 v240, 64, v240                               // 000000012DF8: 69E1E0C0
	s_nop 0                                                    // 000000012DFC: BF800000
	v_cndmask_b32_e64 v140, v41, v140, s[40:41]                // 000000012E00: D100008C 00A31929
	v_cmp_lt_u32_e64 s[40:41], v241, v42                       // 000000012E08: D0C90028 000255F1
	v_add_u32_e32 v241, 64, v241                               // 000000012E10: 69E3E2C0
	s_nop 0                                                    // 000000012E14: BF800000
	v_cndmask_b32_e64 v141, v41, v141, s[40:41]                // 000000012E18: D100008D 00A31B29
	v_cmp_lt_u32_e64 s[40:41], v242, v42                       // 000000012E20: D0C90028 000255F2
	v_add_u32_e32 v242, 64, v242                               // 000000012E28: 69E5E4C0
	s_nop 0                                                    // 000000012E2C: BF800000
	v_cndmask_b32_e64 v142, v41, v142, s[40:41]                // 000000012E30: D100008E 00A31D29
	v_cmp_lt_u32_e64 s[40:41], v243, v42                       // 000000012E38: D0C90028 000255F3
	v_add_u32_e32 v243, 64, v243                               // 000000012E40: 69E7E6C0
	s_nop 0                                                    // 000000012E44: BF800000
	v_cndmask_b32_e64 v143, v41, v143, s[40:41]                // 000000012E48: D100008F 00A31F29
	v_mov_b32_e32 v62, v128                                    // 000000012E50: 7E7C0380
	v_max3_f32 v62, v128, v129, v62                            // 000000012E54: D1D3003E 04FB0380
	v_max3_f32 v62, v130, v131, v62                            // 000000012E5C: D1D3003E 04FB0782
	v_max3_f32 v62, v132, v133, v62                            // 000000012E64: D1D3003E 04FB0B84
	v_max3_f32 v62, v134, v135, v62                            // 000000012E6C: D1D3003E 04FB0F86
	v_max3_f32 v62, v136, v137, v62                            // 000000012E74: D1D3003E 04FB1388
	v_max3_f32 v62, v138, v139, v62                            // 000000012E7C: D1D3003E 04FB178A
	v_max3_f32 v62, v140, v141, v62                            // 000000012E84: D1D3003E 04FB1B8C
	v_max3_f32 v62, v142, v143, v62                            // 000000012E8C: D1D3003E 04FB1F8E
	ds_write_b32 v11, v62 offset:16896                         // 000000012E94: D81A4200 00003E0B
	v_mul_u32_u24_dpp v41, v19, v68 row_newbcast:1 row_mask:0xf bank_mask:0xf// 000000012E9C: 105288FA FF015113
	v_mul_u32_u24_dpp v42, v19, v68 row_newbcast:5 row_mask:0xf bank_mask:0xf// 000000012EA4: 105488FA FF015513
	v_mul_u32_u24_dpp v43, v19, v68 row_newbcast:9 row_mask:0xf bank_mask:0xf// 000000012EAC: 105688FA FF015913
	v_mul_u32_u24_dpp v44, v19, v68 row_newbcast:13 row_mask:0xf bank_mask:0xf// 000000012EB4: 105888FA FF015D13
	v_add_u32_e32 v33, v41, v7                                 // 000000012EBC: 68420F29
	v_add_u32_e32 v34, v42, v7                                 // 000000012EC0: 68440F2A
	v_add_u32_e32 v35, v43, v7                                 // 000000012EC4: 68460F2B
	v_add_u32_e32 v36, v44, v7                                 // 000000012EC8: 68480F2C
	v_mul_f32_e32 v224, v63, v224                              // 000000012ECC: 0BC1C13F
	v_mul_f32_e32 v225, v63, v225                              // 000000012ED0: 0BC3C33F
	v_mul_f32_e32 v226, v63, v226                              // 000000012ED4: 0BC5C53F
	v_mul_f32_e32 v227, v63, v227                              // 000000012ED8: 0BC7C73F
	v_mul_f32_e32 v228, v63, v228                              // 000000012EDC: 0BC9C93F
	v_mul_f32_e32 v229, v63, v229                              // 000000012EE0: 0BCBCB3F
	v_mul_f32_e32 v230, v63, v230                              // 000000012EE4: 0BCDCD3F
	v_mul_f32_e32 v231, v63, v231                              // 000000012EE8: 0BCFCF3F
	s_waitcnt lgkmcnt(0)                                       // 000000012EEC: BF8CC07F
	s_barrier                                                  // 000000012EF0: BF8A0000
	ds_read_b32 v80, v10 offset:16896                          // 000000012EF4: D86C4200 5000000A
	ds_read_b32 v81, v10 offset:16960                          // 000000012EFC: D86C4240 5100000A
	ds_read_b32 v82, v10 offset:17024                          // 000000012F04: D86C4280 5200000A
	ds_read_b32 v83, v10 offset:17088                          // 000000012F0C: D86C42C0 5300000A
	ds_read_b32 v84, v10 offset:17152                          // 000000012F14: D86C4300 5400000A
	ds_read_b32 v85, v10 offset:17216                          // 000000012F1C: D86C4340 5500000A
	ds_read_b32 v86, v10 offset:17280                          // 000000012F24: D86C4380 5600000A
	ds_read_b32 v87, v10 offset:17344                          // 000000012F2C: D86C43C0 5700000A
	ds_read_b32 v88, v10 offset:17408                          // 000000012F34: D86C4400 5800000A
	ds_read_b32 v89, v10 offset:17472                          // 000000012F3C: D86C4440 5900000A
	ds_read_b32 v90, v10 offset:17536                          // 000000012F44: D86C4480 5A00000A
	ds_read_b32 v91, v10 offset:17600                          // 000000012F4C: D86C44C0 5B00000A
	ds_read_b32 v92, v10 offset:17664                          // 000000012F54: D86C4500 5C00000A
	ds_read_b32 v93, v10 offset:17728                          // 000000012F5C: D86C4540 5D00000A
	ds_read_b32 v94, v10 offset:17792                          // 000000012F64: D86C4580 5E00000A
	ds_read_b32 v95, v10 offset:17856                          // 000000012F6C: D86C45C0 5F00000A
	v_cvt_f32_i32_e32 v192, v192                               // 000000012F74: 7F800BC0
	v_cvt_f32_i32_e32 v193, v193                               // 000000012F78: 7F820BC1
	v_cvt_f32_i32_e32 v194, v194                               // 000000012F7C: 7F840BC2
	v_cvt_f32_i32_e32 v195, v195                               // 000000012F80: 7F860BC3
	v_cvt_f32_i32_e32 v196, v196                               // 000000012F84: 7F880BC4
	v_cvt_f32_i32_e32 v197, v197                               // 000000012F88: 7F8A0BC5
	v_cvt_f32_i32_e32 v198, v198                               // 000000012F8C: 7F8C0BC6
	v_cvt_f32_i32_e32 v199, v199                               // 000000012F90: 7F8E0BC7
	v_mul_f32_e32 v192, v58, v192                              // 000000012F94: 0B81813A
	v_mul_f32_e32 v193, v58, v193                              // 000000012F98: 0B83833A
	v_mul_f32_e32 v194, v58, v194                              // 000000012F9C: 0B85853A
	v_mul_f32_e32 v195, v58, v195                              // 000000012FA0: 0B87873A
	v_mul_f32_e32 v196, v58, v196                              // 000000012FA4: 0B89893A
	v_mul_f32_e32 v197, v58, v197                              // 000000012FA8: 0B8B8B3A
	v_mul_f32_e32 v198, v58, v198                              // 000000012FAC: 0B8D8D3A
	v_mul_f32_e32 v199, v58, v199                              // 000000012FB0: 0B8F8F3A
	s_waitcnt lgkmcnt(0)                                       // 000000012FB4: BF8CC07F
	v_max3_f32 v62, v80, v81, v62                              // 000000012FB8: D1D3003E 04FAA350
	v_max3_f32 v62, v82, v83, v62                              // 000000012FC0: D1D3003E 04FAA752
	v_max3_f32 v62, v84, v85, v62                              // 000000012FC8: D1D3003E 04FAAB54
	v_max3_f32 v62, v86, v87, v62                              // 000000012FD0: D1D3003E 04FAAF56
	v_max3_f32 v62, v88, v89, v62                              // 000000012FD8: D1D3003E 04FAB358
	v_max3_f32 v62, v90, v91, v62                              // 000000012FE0: D1D3003E 04FAB75A
	v_max3_f32 v62, v92, v93, v62                              // 000000012FE8: D1D3003E 04FABB5C
	v_max3_f32 v62, v94, v95, v62                              // 000000012FF0: D1D3003E 04FABF5E
	v_mov_b32_e32 v41, 0xff800000                              // 000000012FF8: 7E5202FF FF800000
	v_cmp_eq_u32_e64 s[40:41], v41, v14                        // 000000013000: D0CA0028 00021D29
	s_nop 1                                                    // 000000013008: BF800001
	v_max_f32_e32 v18, v62, v14                                // 00000001300C: 16241D3E
	v_mul_f32_e32 v67, s64, v18                                // 000000013010: 0A862440
	v_fma_f32 v128, v128, s64, -v67                            // 000000013014: D1CB0080 850C8180
	v_fma_f32 v129, v129, s64, -v67                            // 00000001301C: D1CB0081 850C8181
	v_fma_f32 v130, v130, s64, -v67                            // 000000013024: D1CB0082 850C8182
	v_fma_f32 v131, v131, s64, -v67                            // 00000001302C: D1CB0083 850C8183
	v_fma_f32 v132, v132, s64, -v67                            // 000000013034: D1CB0084 850C8184
	v_fma_f32 v133, v133, s64, -v67                            // 00000001303C: D1CB0085 850C8185
	v_fma_f32 v134, v134, s64, -v67                            // 000000013044: D1CB0086 850C8186
	v_fma_f32 v135, v135, s64, -v67                            // 00000001304C: D1CB0087 850C8187
	v_fma_f32 v136, v136, s64, -v67                            // 000000013054: D1CB0088 850C8188
	v_fma_f32 v137, v137, s64, -v67                            // 00000001305C: D1CB0089 850C8189
	v_fma_f32 v138, v138, s64, -v67                            // 000000013064: D1CB008A 850C818A
	v_fma_f32 v139, v139, s64, -v67                            // 00000001306C: D1CB008B 850C818B
	v_fma_f32 v140, v140, s64, -v67                            // 000000013074: D1CB008C 850C818C
	v_fma_f32 v141, v141, s64, -v67                            // 00000001307C: D1CB008D 850C818D
	v_fma_f32 v142, v142, s64, -v67                            // 000000013084: D1CB008E 850C818E
	v_fma_f32 v143, v143, s64, -v67                            // 00000001308C: D1CB008F 850C818F
	v_exp_f32_e32 v128, v128                                   // 000000013094: 7F004180
	v_exp_f32_e32 v129, v129                                   // 000000013098: 7F024181
	v_exp_f32_e32 v130, v130                                   // 00000001309C: 7F044182
	v_exp_f32_e32 v131, v131                                   // 0000000130A0: 7F064183
	v_exp_f32_e32 v132, v132                                   // 0000000130A4: 7F084184
	v_exp_f32_e32 v133, v133                                   // 0000000130A8: 7F0A4185
	v_exp_f32_e32 v134, v134                                   // 0000000130AC: 7F0C4186
	v_exp_f32_e32 v135, v135                                   // 0000000130B0: 7F0E4187
	v_exp_f32_e32 v136, v136                                   // 0000000130B4: 7F104188
	v_exp_f32_e32 v137, v137                                   // 0000000130B8: 7F124189
	v_exp_f32_e32 v138, v138                                   // 0000000130BC: 7F14418A
	v_exp_f32_e32 v139, v139                                   // 0000000130C0: 7F16418B
	v_exp_f32_e32 v140, v140                                   // 0000000130C4: 7F18418C
	v_exp_f32_e32 v141, v141                                   // 0000000130C8: 7F1A418D
	v_exp_f32_e32 v142, v142                                   // 0000000130CC: 7F1C418E
	v_exp_f32_e32 v143, v143                                   // 0000000130D0: 7F1E418F
	v_mul_f32_dpp v240, v252, v128 quad_perm:[0,0,0,0] row_mask:0xf bank_mask:0xf// 0000000130D4: 0BE100FA FF0000FC
	v_mul_f32_dpp v241, v252, v129 quad_perm:[1,1,1,1] row_mask:0xf bank_mask:0xf// 0000000130DC: 0BE302FA FF0055FC
	v_mul_f32_dpp v242, v252, v130 quad_perm:[2,2,2,2] row_mask:0xf bank_mask:0xf// 0000000130E4: 0BE504FA FF00AAFC
	v_mul_f32_dpp v243, v252, v131 quad_perm:[3,3,3,3] row_mask:0xf bank_mask:0xf// 0000000130EC: 0BE706FA FF00FFFC
	v_mul_f32_dpp v244, v253, v132 quad_perm:[0,0,0,0] row_mask:0xf bank_mask:0xf// 0000000130F4: 0BE908FA FF0000FD
	v_mul_f32_dpp v245, v253, v133 quad_perm:[1,1,1,1] row_mask:0xf bank_mask:0xf// 0000000130FC: 0BEB0AFA FF0055FD
	v_mul_f32_dpp v246, v253, v134 quad_perm:[2,2,2,2] row_mask:0xf bank_mask:0xf// 000000013104: 0BED0CFA FF00AAFD
	v_mul_f32_dpp v247, v253, v135 quad_perm:[3,3,3,3] row_mask:0xf bank_mask:0xf// 00000001310C: 0BEF0EFA FF00FFFD
	v_mul_f32_dpp v248, v254, v136 quad_perm:[0,0,0,0] row_mask:0xf bank_mask:0xf// 000000013114: 0BF110FA FF0000FE
	v_mul_f32_dpp v249, v254, v137 quad_perm:[1,1,1,1] row_mask:0xf bank_mask:0xf// 00000001311C: 0BF312FA FF0055FE
	v_mul_f32_dpp v250, v254, v138 quad_perm:[2,2,2,2] row_mask:0xf bank_mask:0xf// 000000013124: 0BF514FA FF00AAFE
	v_mul_f32_dpp v251, v254, v139 quad_perm:[3,3,3,3] row_mask:0xf bank_mask:0xf// 00000001312C: 0BF716FA FF00FFFE
	v_mul_f32_dpp v252, v255, v140 quad_perm:[0,0,0,0] row_mask:0xf bank_mask:0xf// 000000013134: 0BF918FA FF0000FF
	v_mul_f32_dpp v253, v255, v141 quad_perm:[1,1,1,1] row_mask:0xf bank_mask:0xf// 00000001313C: 0BFB1AFA FF0055FF
	v_mul_f32_dpp v254, v255, v142 quad_perm:[2,2,2,2] row_mask:0xf bank_mask:0xf// 000000013144: 0BFD1CFA FF00AAFF
	v_mul_f32_dpp v255, v255, v143 quad_perm:[3,3,3,3] row_mask:0xf bank_mask:0xf// 00000001314C: 0BFF1EFA FF00FFFF
	v_mov_b32_e32 v62, 0x358637bd                              // 000000013154: 7E7C02FF 358637BD
	v_max3_f32 v62, |v240|, |v241|, v62                        // 00000001315C: D1D3033E 04FBE3F0
	v_max3_f32 v62, |v242|, |v243|, v62                        // 000000013164: D1D3033E 04FBE7F2
	v_max3_f32 v62, |v244|, |v245|, v62                        // 00000001316C: D1D3033E 04FBEBF4
	v_max3_f32 v62, |v246|, |v247|, v62                        // 000000013174: D1D3033E 04FBEFF6
	v_max3_f32 v62, |v248|, |v249|, v62                        // 00000001317C: D1D3033E 04FBF3F8
	v_max3_f32 v62, |v250|, |v251|, v62                        // 000000013184: D1D3033E 04FBF7FA
	v_max3_f32 v62, |v252|, |v253|, v62                        // 00000001318C: D1D3033E 04FBFBFC
	v_max3_f32 v62, |v254|, |v255|, v62                        // 000000013194: D1D3033E 04FBFFFE
	ds_write_b32 v11, v62 offset:20992                         // 00000001319C: D81A5200 00003E0B
	v_sub_f32_e32 v63, v14, v18                                // 0000000131A4: 047E250E
	v_cndmask_b32_e64 v63, v63, 0, s[40:41]                    // 0000000131A8: D100003F 00A1013F
	v_mov_b32_e32 v14, v18                                     // 0000000131B0: 7E1C0312
	v_mul_f32_e32 v63, s64, v63                                // 0000000131B4: 0A7E7E40
	v_exp_f32_e32 v63, v63                                     // 0000000131B8: 7E7E413F
	s_waitcnt lgkmcnt(0)                                       // 0000000131BC: BF8CC07F
	s_barrier                                                  // 0000000131C0: BF8A0000
	ds_read_b32 v80, v10 offset:20992                          // 0000000131C4: D86C5200 5000000A
	ds_read_b32 v81, v10 offset:21056                          // 0000000131CC: D86C5240 5100000A
	ds_read_b32 v82, v10 offset:21120                          // 0000000131D4: D86C5280 5200000A
	ds_read_b32 v83, v10 offset:21184                          // 0000000131DC: D86C52C0 5300000A
	ds_read_b32 v84, v10 offset:21248                          // 0000000131E4: D86C5300 5400000A
	ds_read_b32 v85, v10 offset:21312                          // 0000000131EC: D86C5340 5500000A
	ds_read_b32 v86, v10 offset:21376                          // 0000000131F4: D86C5380 5600000A
	ds_read_b32 v87, v10 offset:21440                          // 0000000131FC: D86C53C0 5700000A
	ds_read_b32 v88, v10 offset:21504                          // 000000013204: D86C5400 5800000A
	ds_read_b32 v89, v10 offset:21568                          // 00000001320C: D86C5440 5900000A
	ds_read_b32 v90, v10 offset:21632                          // 000000013214: D86C5480 5A00000A
	ds_read_b32 v91, v10 offset:21696                          // 00000001321C: D86C54C0 5B00000A
	ds_read_b32 v92, v10 offset:21760                          // 000000013224: D86C5500 5C00000A
	ds_read_b32 v93, v10 offset:21824                          // 00000001322C: D86C5540 5D00000A
	ds_read_b32 v94, v10 offset:21888                          // 000000013234: D86C5580 5E00000A
	ds_read_b32 v95, v10 offset:21952                          // 00000001323C: D86C55C0 5F00000A
	v_mul_f32_e32 v47, v63, v47                                // 000000013244: 0A5E5F3F
	v_mov_b32_e32 v18, v128                                    // 000000013248: 7E240380
	v_add_f32_e32 v18, v129, v18                               // 00000001324C: 02242581
	v_add_f32_e32 v18, v130, v18                               // 000000013250: 02242582
	v_add_f32_e32 v18, v131, v18                               // 000000013254: 02242583
	;; [unrolled: 1-line block ×3, first 2 shown]
	v_add_f32_e32 v18, v133, v18                               // 00000001325C: 02242585
	v_add_f32_e32 v18, v134, v18                               // 000000013260: 02242586
	v_add_f32_e32 v18, v135, v18                               // 000000013264: 02242587
	;; [unrolled: 1-line block ×3, first 2 shown]
	v_add_f32_e32 v18, v137, v18                               // 00000001326C: 02242589
	v_add_f32_e32 v18, v138, v18                               // 000000013270: 0224258A
	v_add_f32_e32 v18, v139, v18                               // 000000013274: 0224258B
	v_add_f32_e32 v18, v140, v18                               // 000000013278: 0224258C
	v_add_f32_e32 v18, v141, v18                               // 00000001327C: 0224258D
	v_add_f32_e32 v18, v142, v18                               // 000000013280: 0224258E
	v_add_f32_e32 v18, v143, v18                               // 000000013284: 0224258F
	v_add_f32_e32 v47, v18, v47                                // 000000013288: 025E5F12
	s_waitcnt lgkmcnt(0)                                       // 00000001328C: BF8CC07F
	v_max3_f32 v62, |v80|, |v81|, v62                          // 000000013290: D1D3033E 04FAA350
	v_max3_f32 v62, |v82|, |v83|, v62                          // 000000013298: D1D3033E 04FAA752
	v_max3_f32 v62, |v84|, |v85|, v62                          // 0000000132A0: D1D3033E 04FAAB54
	v_max3_f32 v62, |v86|, |v87|, v62                          // 0000000132A8: D1D3033E 04FAAF56
	v_max3_f32 v62, |v88|, |v89|, v62                          // 0000000132B0: D1D3033E 04FAB358
	v_max3_f32 v62, |v90|, |v91|, v62                          // 0000000132B8: D1D3033E 04FAB75A
	v_max3_f32 v62, |v92|, |v93|, v62                          // 0000000132C0: D1D3033E 04FABB5C
	v_max3_f32 v62, |v94|, |v95|, v62                          // 0000000132C8: D1D3033E 04FABF5E
	s_nop 2                                                    // 0000000132D0: BF800002
	v_rcp_f32_e32 v62, v62                                     // 0000000132D4: 7E7C453E
	s_nop 1                                                    // 0000000132D8: BF800001
	v_mul_f32_e32 v62, 0x42fe0000, v62                         // 0000000132DC: 0A7C7CFF 42FE0000
	v_mul_f32_e32 v128, v62, v240                              // 0000000132E4: 0B01E13E
	v_mul_f32_e32 v129, v62, v241                              // 0000000132E8: 0B03E33E
	v_mul_f32_e32 v130, v62, v242                              // 0000000132EC: 0B05E53E
	v_mul_f32_e32 v131, v62, v243                              // 0000000132F0: 0B07E73E
	v_mul_f32_e32 v132, v62, v244                              // 0000000132F4: 0B09E93E
	v_mul_f32_e32 v133, v62, v245                              // 0000000132F8: 0B0BEB3E
	v_mul_f32_e32 v134, v62, v246                              // 0000000132FC: 0B0DED3E
	v_mul_f32_e32 v135, v62, v247                              // 000000013300: 0B0FEF3E
	v_mul_f32_e32 v136, v62, v248                              // 000000013304: 0B11F13E
	v_mul_f32_e32 v137, v62, v249                              // 000000013308: 0B13F33E
	v_mul_f32_e32 v138, v62, v250                              // 00000001330C: 0B15F53E
	v_mul_f32_e32 v139, v62, v251                              // 000000013310: 0B17F73E
	v_mul_f32_e32 v140, v62, v252                              // 000000013314: 0B19F93E
	v_mul_f32_e32 v141, v62, v253                              // 000000013318: 0B1BFB3E
	v_mul_f32_e32 v142, v62, v254                              // 00000001331C: 0B1DFD3E
	v_mul_f32_e32 v143, v62, v255                              // 000000013320: 0B1FFF3E
	v_cvt_i32_f32_e32 v128, v128                               // 000000013324: 7F001180
	v_cvt_i32_f32_e32 v129, v129                               // 000000013328: 7F021181
	v_cvt_i32_f32_e32 v130, v130                               // 00000001332C: 7F041182
	v_cvt_i32_f32_e32 v131, v131                               // 000000013330: 7F061183
	v_cvt_i32_f32_e32 v132, v132                               // 000000013334: 7F081184
	v_cvt_i32_f32_e32 v133, v133                               // 000000013338: 7F0A1185
	v_cvt_i32_f32_e32 v134, v134                               // 00000001333C: 7F0C1186
	v_cvt_i32_f32_e32 v135, v135                               // 000000013340: 7F0E1187
	v_cvt_i32_f32_e32 v136, v136                               // 000000013344: 7F101188
	v_cvt_i32_f32_e32 v137, v137                               // 000000013348: 7F121189
	v_cvt_i32_f32_e32 v138, v138                               // 00000001334C: 7F14118A
	v_cvt_i32_f32_e32 v139, v139                               // 000000013350: 7F16118B
	v_cvt_i32_f32_e32 v140, v140                               // 000000013354: 7F18118C
	v_cvt_i32_f32_e32 v141, v141                               // 000000013358: 7F1A118D
	v_cvt_i32_f32_e32 v142, v142                               // 00000001335C: 7F1C118E
	v_cvt_i32_f32_e32 v143, v143                               // 000000013360: 7F1E118F
	v_perm_b32 v128, v129, v128, s53                           // 000000013364: D1ED0080 00D70181
	v_perm_b32 v128, v130, v128, s54                           // 00000001336C: D1ED0080 00DB0182
	v_perm_b32 v128, v131, v128, s55                           // 000000013374: D1ED0080 00DF0183
	v_perm_b32 v129, v133, v132, s53                           // 00000001337C: D1ED0081 00D70985
	v_perm_b32 v129, v134, v129, s54                           // 000000013384: D1ED0081 00DB0386
	v_perm_b32 v129, v135, v129, s55                           // 00000001338C: D1ED0081 00DF0387
	v_perm_b32 v130, v137, v136, s53                           // 000000013394: D1ED0082 00D71189
	v_perm_b32 v130, v138, v130, s54                           // 00000001339C: D1ED0082 00DB058A
	v_perm_b32 v130, v139, v130, s55                           // 0000000133A4: D1ED0082 00DF058B
	v_perm_b32 v131, v141, v140, s53                           // 0000000133AC: D1ED0083 00D7198D
	v_perm_b32 v131, v142, v131, s54                           // 0000000133B4: D1ED0083 00DB078E
	v_perm_b32 v131, v143, v131, s55                           // 0000000133BC: D1ED0083 00DF078F
	ds_write_b32 v13, v128 offset:25088                        // 0000000133C4: D81A6200 0000800D
	ds_write_b32 v13, v129 offset:26112                        // 0000000133CC: D81A6600 0000810D
	ds_write_b32 v13, v130 offset:27136                        // 0000000133D4: D81A6A00 0000820D
	ds_write_b32 v13, v131 offset:28160                        // 0000000133DC: D81A6E00 0000830D
	v_add_f32_e32 v224, v224, v192                             // 0000000133E4: 03C181E0
	v_add_f32_e32 v225, v225, v193                             // 0000000133E8: 03C383E1
	v_add_f32_e32 v226, v226, v194                             // 0000000133EC: 03C585E2
	v_add_f32_e32 v227, v227, v195                             // 0000000133F0: 03C787E3
	v_add_f32_e32 v228, v228, v196                             // 0000000133F4: 03C989E4
	v_add_f32_e32 v229, v229, v197                             // 0000000133F8: 03CB8BE5
	v_add_f32_e32 v230, v230, v198                             // 0000000133FC: 03CD8DE6
	v_add_f32_e32 v231, v231, v199                             // 000000013400: 03CF8FE7
	v_rcp_f32_e32 v58, v62                                     // 000000013404: 7E74453E
	s_waitcnt lgkmcnt(0)                                       // 000000013408: BF8CC07F
	s_barrier                                                  // 00000001340C: BF8A0000
	ds_read_b64 v[128:129], v12 offset:25088                   // 000000013410: D8EC6200 8000000C
	ds_read_b64 v[130:131], v12 offset:25216                   // 000000013418: D8EC6280 8200000C
	ds_read_b64 v[132:133], v12 offset:26112                   // 000000013420: D8EC6600 8400000C
	ds_read_b64 v[134:135], v12 offset:26240                   // 000000013428: D8EC6680 8600000C
	ds_read_b64 v[136:137], v12 offset:27136                   // 000000013430: D8EC6A00 8800000C
	ds_read_b64 v[138:139], v12 offset:27264                   // 000000013438: D8EC6A80 8A00000C
	ds_read_b64 v[140:141], v12 offset:28160                   // 000000013440: D8EC6E00 8C00000C
	ds_read_b64 v[142:143], v12 offset:28288                   // 000000013448: D8EC6E80 8E00000C
	v_mov_b32_dpp v41, v53 row_shr:4 row_mask:0xf bank_mask:0xf// 000000013450: 7E5202FA FF011435
	v_mov_b32_dpp v42, v53 row_shl:4 row_mask:0xf bank_mask:0xf// 000000013458: 7E5402FA FF010435
	v_cndmask_b32_e64 v248, v53, v41, s[44:45]                 // 000000013460: D10000F8 00B25335
	v_cndmask_b32_e64 v249, v42, v53, s[44:45]                 // 000000013468: D10000F9 00B26B2A
	v_mov_b32_dpp v41, v248 row_shr:8 row_mask:0xf bank_mask:0xf// 000000013470: 7E5202FA FF0118F8
	v_mov_b32_dpp v42, v248 row_shl:8 row_mask:0xf bank_mask:0xf// 000000013478: 7E5402FA FF0108F8
	v_mov_b32_dpp v43, v249 row_shr:8 row_mask:0xf bank_mask:0xf// 000000013480: 7E5602FA FF0118F9
	v_mov_b32_dpp v44, v249 row_shl:8 row_mask:0xf bank_mask:0xf// 000000013488: 7E5802FA FF0108F9
	v_mov_b32_e32 v45, v248                                    // 000000013490: 7E5A03F8
	v_mov_b32_e32 v46, v249                                    // 000000013494: 7E5C03F9
	v_cndmask_b32_e64 v248, v45, v41, s[42:43]                 // 000000013498: D10000F8 00AA532D
	v_cndmask_b32_e64 v250, v45, v42, s[78:79]                 // 0000000134A0: D10000FA 013A552D
	v_cndmask_b32_e64 v249, v46, v43, s[42:43]                 // 0000000134A8: D10000F9 00AA572E
	v_cndmask_b32_e64 v251, v46, v44, s[78:79]                 // 0000000134B0: D10000FB 013A592E
	v_mov_b32_dpp v41, v73 row_shr:4 row_mask:0xf bank_mask:0xf// 0000000134B8: 7E5202FA FF011449
	v_mov_b32_dpp v42, v73 row_shl:4 row_mask:0xf bank_mask:0xf// 0000000134C0: 7E5402FA FF010449
	v_cndmask_b32_e64 v252, v73, v41, s[44:45]                 // 0000000134C8: D10000FC 00B25349
	v_cndmask_b32_e64 v253, v42, v73, s[44:45]                 // 0000000134D0: D10000FD 00B2932A
	v_mov_b32_dpp v41, v252 row_shr:8 row_mask:0xf bank_mask:0xf// 0000000134D8: 7E5202FA FF0118FC
	v_mov_b32_dpp v42, v252 row_shl:8 row_mask:0xf bank_mask:0xf// 0000000134E0: 7E5402FA FF0108FC
	v_mov_b32_dpp v43, v253 row_shr:8 row_mask:0xf bank_mask:0xf// 0000000134E8: 7E5602FA FF0118FD
	v_mov_b32_dpp v44, v253 row_shl:8 row_mask:0xf bank_mask:0xf// 0000000134F0: 7E5802FA FF0108FD
	v_mov_b32_e32 v45, v252                                    // 0000000134F8: 7E5A03FC
	v_mov_b32_e32 v46, v253                                    // 0000000134FC: 7E5C03FD
	v_cndmask_b32_e64 v252, v45, v41, s[42:43]                 // 000000013500: D10000FC 00AA532D
	v_cndmask_b32_e64 v254, v45, v42, s[78:79]                 // 000000013508: D10000FE 013A552D
	v_cndmask_b32_e64 v253, v46, v43, s[42:43]                 // 000000013510: D10000FD 00AA572E
	v_cndmask_b32_e64 v255, v46, v44, s[78:79]                 // 000000013518: D10000FF 013A592E
	v_cvt_f32_i32_e32 v144, v144                               // 000000013520: 7F200B90
	v_cvt_f32_i32_e32 v145, v145                               // 000000013524: 7F220B91
	v_cvt_f32_i32_e32 v146, v146                               // 000000013528: 7F240B92
	v_cvt_f32_i32_e32 v147, v147                               // 00000001352C: 7F260B93
	v_cvt_f32_i32_e32 v148, v148                               // 000000013530: 7F280B94
	v_cvt_f32_i32_e32 v149, v149                               // 000000013534: 7F2A0B95
	v_cvt_f32_i32_e32 v150, v150                               // 000000013538: 7F2C0B96
	v_cvt_f32_i32_e32 v151, v151                               // 00000001353C: 7F2E0B97
	v_cvt_f32_i32_e32 v152, v152                               // 000000013540: 7F300B98
	v_cvt_f32_i32_e32 v153, v153                               // 000000013544: 7F320B99
	v_cvt_f32_i32_e32 v154, v154                               // 000000013548: 7F340B9A
	v_cvt_f32_i32_e32 v155, v155                               // 00000001354C: 7F360B9B
	v_cvt_f32_i32_e32 v156, v156                               // 000000013550: 7F380B9C
	v_cvt_f32_i32_e32 v157, v157                               // 000000013554: 7F3A0B9D
	v_cvt_f32_i32_e32 v158, v158                               // 000000013558: 7F3C0B9E
	v_cvt_f32_i32_e32 v159, v159                               // 00000001355C: 7F3E0B9F
	v_mul_f32_e32 v144, v55, v144                              // 000000013560: 0B212137
	v_mul_f32_e32 v145, v55, v145                              // 000000013564: 0B232337
	v_mul_f32_e32 v146, v55, v146                              // 000000013568: 0B252537
	v_mul_f32_e32 v147, v55, v147                              // 00000001356C: 0B272737
	v_mul_f32_e32 v148, v55, v148                              // 000000013570: 0B292937
	v_mul_f32_e32 v149, v55, v149                              // 000000013574: 0B2B2B37
	v_mul_f32_e32 v150, v55, v150                              // 000000013578: 0B2D2D37
	v_mul_f32_e32 v151, v55, v151                              // 00000001357C: 0B2F2F37
	v_mul_f32_e32 v152, v55, v152                              // 000000013580: 0B313137
	v_mul_f32_e32 v153, v55, v153                              // 000000013584: 0B333337
	v_mul_f32_e32 v154, v55, v154                              // 000000013588: 0B353537
	v_mul_f32_e32 v155, v55, v155                              // 00000001358C: 0B373737
	v_mul_f32_e32 v156, v55, v156                              // 000000013590: 0B393937
	v_mul_f32_e32 v157, v55, v157                              // 000000013594: 0B3B3B37
	v_mul_f32_e32 v158, v55, v158                              // 000000013598: 0B3D3D37
	v_mul_f32_e32 v159, v55, v159                              // 00000001359C: 0B3F3F37
	v_mul_f32_dpp v144, v248, v144 quad_perm:[0,0,0,0] row_mask:0xf bank_mask:0xf// 0000000135A0: 0B2120FA FF0000F8
	v_mul_f32_dpp v145, v248, v145 quad_perm:[1,1,1,1] row_mask:0xf bank_mask:0xf// 0000000135A8: 0B2322FA FF0055F8
	v_mul_f32_dpp v146, v248, v146 quad_perm:[2,2,2,2] row_mask:0xf bank_mask:0xf// 0000000135B0: 0B2524FA FF00AAF8
	v_mul_f32_dpp v147, v248, v147 quad_perm:[3,3,3,3] row_mask:0xf bank_mask:0xf// 0000000135B8: 0B2726FA FF00FFF8
	v_mul_f32_dpp v148, v249, v148 quad_perm:[0,0,0,0] row_mask:0xf bank_mask:0xf// 0000000135C0: 0B2928FA FF0000F9
	v_mul_f32_dpp v149, v249, v149 quad_perm:[1,1,1,1] row_mask:0xf bank_mask:0xf// 0000000135C8: 0B2B2AFA FF0055F9
	v_mul_f32_dpp v150, v249, v150 quad_perm:[2,2,2,2] row_mask:0xf bank_mask:0xf// 0000000135D0: 0B2D2CFA FF00AAF9
	v_mul_f32_dpp v151, v249, v151 quad_perm:[3,3,3,3] row_mask:0xf bank_mask:0xf// 0000000135D8: 0B2F2EFA FF00FFF9
	v_mul_f32_dpp v152, v250, v152 quad_perm:[0,0,0,0] row_mask:0xf bank_mask:0xf// 0000000135E0: 0B3130FA FF0000FA
	v_mul_f32_dpp v153, v250, v153 quad_perm:[1,1,1,1] row_mask:0xf bank_mask:0xf// 0000000135E8: 0B3332FA FF0055FA
	v_mul_f32_dpp v154, v250, v154 quad_perm:[2,2,2,2] row_mask:0xf bank_mask:0xf// 0000000135F0: 0B3534FA FF00AAFA
	v_mul_f32_dpp v155, v250, v155 quad_perm:[3,3,3,3] row_mask:0xf bank_mask:0xf// 0000000135F8: 0B3736FA FF00FFFA
	v_mul_f32_dpp v156, v251, v156 quad_perm:[0,0,0,0] row_mask:0xf bank_mask:0xf// 000000013600: 0B3938FA FF0000FB
	v_mul_f32_dpp v157, v251, v157 quad_perm:[1,1,1,1] row_mask:0xf bank_mask:0xf// 000000013608: 0B3B3AFA FF0055FB
	v_mul_f32_dpp v158, v251, v158 quad_perm:[2,2,2,2] row_mask:0xf bank_mask:0xf// 000000013610: 0B3D3CFA FF00AAFB
	v_mul_f32_dpp v159, v251, v159 quad_perm:[3,3,3,3] row_mask:0xf bank_mask:0xf// 000000013618: 0B3F3EFA FF00FFFB
	s_cmp_le_i32 s90, s89                                      // 000000013620: BF05595A
	s_cbranch_scc1 label_457D                                  // 000000013624: BF850073
	v_mov_b32_e32 v69, 0xff800000                              // 000000013628: 7E8A02FF FF800000
	s_mov_b32 s60, s90                                         // 000000013630: BEBC005A
	s_add_u32 s61, s89, 0xff                                   // 000000013634: 803DFF59 000000FF
	v_mov_b32_e32 v41, s61                                     // 00000001363C: 7E52023D
	v_lshrrev_b32_e32 v240, 4, v0                              // 000000013640: 21E00084
	v_mul_i32_i24_e32 v240, 4, v240                            // 000000013644: 0DE1E084
	v_add_u32_e32 v240, s60, v240                              // 000000013648: 69E1E03C
	v_and_b32_e32 v42, 15, v0                                  // 00000001364C: 2654008F
	v_lshrrev_b32_e32 v42, 3, v42                              // 000000013650: 20545483
	s_mov_b32 s61, 2                                           // 000000013654: BEBD0082
	s_mul_i32 s60, 16, s7                                      // 000000013658: 923C0790
	v_add_u32_e32 v42, s61, v42                                // 00000001365C: 6854543D
	v_sub_u32_e32 v240, v240, v42                              // 000000013660: 6BE055F0
	v_add_u32_e32 v240, s60, v240                              // 000000013664: 69E1E03C
	v_add_u32_e32 v241, 1, v240                                // 000000013668: 69E3E081
	v_add_u32_e32 v242, 2, v240                                // 00000001366C: 69E5E082
	v_add_u32_e32 v243, 3, v240                                // 000000013670: 69E7E083
	v_cmp_le_u32_e64 s[40:41], v240, v41                       // 000000013674: D0CB0028 000253F0
	v_add_u32_e32 v240, 64, v240                               // 00000001367C: 69E1E0C0
	s_nop 0                                                    // 000000013680: BF800000
	v_cndmask_b32_e64 v144, v69, v144, s[40:41]                // 000000013684: D1000090 00A32145
	v_cmp_le_u32_e64 s[40:41], v241, v41                       // 00000001368C: D0CB0028 000253F1
	v_add_u32_e32 v241, 64, v241                               // 000000013694: 69E3E2C0
	s_nop 0                                                    // 000000013698: BF800000
	v_cndmask_b32_e64 v145, v69, v145, s[40:41]                // 00000001369C: D1000091 00A32345
	v_cmp_le_u32_e64 s[40:41], v242, v41                       // 0000000136A4: D0CB0028 000253F2
	v_add_u32_e32 v242, 64, v242                               // 0000000136AC: 69E5E4C0
	s_nop 0                                                    // 0000000136B0: BF800000
	v_cndmask_b32_e64 v146, v69, v146, s[40:41]                // 0000000136B4: D1000092 00A32545
	v_cmp_le_u32_e64 s[40:41], v243, v41                       // 0000000136BC: D0CB0028 000253F3
	v_add_u32_e32 v243, 64, v243                               // 0000000136C4: 69E7E6C0
	s_nop 0                                                    // 0000000136C8: BF800000
	v_cndmask_b32_e64 v147, v69, v147, s[40:41]                // 0000000136CC: D1000093 00A32745
	v_cmp_le_u32_e64 s[40:41], v240, v41                       // 0000000136D4: D0CB0028 000253F0
	v_add_u32_e32 v240, 64, v240                               // 0000000136DC: 69E1E0C0
	s_nop 0                                                    // 0000000136E0: BF800000
	v_cndmask_b32_e64 v148, v69, v148, s[40:41]                // 0000000136E4: D1000094 00A32945
	v_cmp_le_u32_e64 s[40:41], v241, v41                       // 0000000136EC: D0CB0028 000253F1
	v_add_u32_e32 v241, 64, v241                               // 0000000136F4: 69E3E2C0
	s_nop 0                                                    // 0000000136F8: BF800000
	v_cndmask_b32_e64 v149, v69, v149, s[40:41]                // 0000000136FC: D1000095 00A32B45
	v_cmp_le_u32_e64 s[40:41], v242, v41                       // 000000013704: D0CB0028 000253F2
	v_add_u32_e32 v242, 64, v242                               // 00000001370C: 69E5E4C0
	s_nop 0                                                    // 000000013710: BF800000
	v_cndmask_b32_e64 v150, v69, v150, s[40:41]                // 000000013714: D1000096 00A32D45
	v_cmp_le_u32_e64 s[40:41], v243, v41                       // 00000001371C: D0CB0028 000253F3
	v_add_u32_e32 v243, 64, v243                               // 000000013724: 69E7E6C0
	s_nop 0                                                    // 000000013728: BF800000
	v_cndmask_b32_e64 v151, v69, v151, s[40:41]                // 00000001372C: D1000097 00A32F45
	v_cmp_le_u32_e64 s[40:41], v240, v41                       // 000000013734: D0CB0028 000253F0
	v_add_u32_e32 v240, 64, v240                               // 00000001373C: 69E1E0C0
	s_nop 0                                                    // 000000013740: BF800000
	v_cndmask_b32_e64 v152, v69, v152, s[40:41]                // 000000013744: D1000098 00A33145
	v_cmp_le_u32_e64 s[40:41], v241, v41                       // 00000001374C: D0CB0028 000253F1
	v_add_u32_e32 v241, 64, v241                               // 000000013754: 69E3E2C0
	s_nop 0                                                    // 000000013758: BF800000
	v_cndmask_b32_e64 v153, v69, v153, s[40:41]                // 00000001375C: D1000099 00A33345
	v_cmp_le_u32_e64 s[40:41], v242, v41                       // 000000013764: D0CB0028 000253F2
	v_add_u32_e32 v242, 64, v242                               // 00000001376C: 69E5E4C0
	s_nop 0                                                    // 000000013770: BF800000
	v_cndmask_b32_e64 v154, v69, v154, s[40:41]                // 000000013774: D100009A 00A33545
	v_cmp_le_u32_e64 s[40:41], v243, v41                       // 00000001377C: D0CB0028 000253F3
	v_add_u32_e32 v243, 64, v243                               // 000000013784: 69E7E6C0
	s_nop 0                                                    // 000000013788: BF800000
	v_cndmask_b32_e64 v155, v69, v155, s[40:41]                // 00000001378C: D100009B 00A33745
	v_cmp_le_u32_e64 s[40:41], v240, v41                       // 000000013794: D0CB0028 000253F0
	v_add_u32_e32 v240, 64, v240                               // 00000001379C: 69E1E0C0
	s_nop 0                                                    // 0000000137A0: BF800000
	v_cndmask_b32_e64 v156, v69, v156, s[40:41]                // 0000000137A4: D100009C 00A33945
	v_cmp_le_u32_e64 s[40:41], v241, v41                       // 0000000137AC: D0CB0028 000253F1
	v_add_u32_e32 v241, 64, v241                               // 0000000137B4: 69E3E2C0
	s_nop 0                                                    // 0000000137B8: BF800000
	v_cndmask_b32_e64 v157, v69, v157, s[40:41]                // 0000000137BC: D100009D 00A33B45
	v_cmp_le_u32_e64 s[40:41], v242, v41                       // 0000000137C4: D0CB0028 000253F2
	v_add_u32_e32 v242, 64, v242                               // 0000000137CC: 69E5E4C0
	s_nop 0                                                    // 0000000137D0: BF800000
	v_cndmask_b32_e64 v158, v69, v158, s[40:41]                // 0000000137D4: D100009E 00A33D45
	v_cmp_le_u32_e64 s[40:41], v243, v41                       // 0000000137DC: D0CB0028 000253F3
	v_add_u32_e32 v243, 64, v243                               // 0000000137E4: 69E7E6C0
	s_nop 0                                                    // 0000000137E8: BF800000
	v_cndmask_b32_e64 v159, v69, v159, s[40:41]                // 0000000137EC: D100009F 00A33F45

00000000000137f4 <label_457D>:
	s_add_u32 s90, s91, s90                                    // 0000000137F4: 805A5A5B
	s_and_b32 s60, s72, 0xff                                   // 0000000137F8: 863CFF48 000000FF
	v_mov_b32_e32 v42, s60                                     // 000000013800: 7E54023C
	v_lshrrev_b32_e32 v240, 4, v0                              // 000000013804: 21E00084
	v_mul_i32_i24_e32 v240, 4, v240                            // 000000013808: 0DE1E084
	s_mul_i32 s60, s7, 16                                      // 00000001380C: 923C9007
	v_add_u32_e32 v240, s60, v240                              // 000000013810: 69E1E03C
	v_add_u32_e32 v241, 1, v240                                // 000000013814: 69E3E081
	v_add_u32_e32 v242, 2, v240                                // 000000013818: 69E5E082
	v_add_u32_e32 v243, 3, v240                                // 00000001381C: 69E7E083
	v_mov_b32_e32 v41, 0xff800000                              // 000000013820: 7E5202FF FF800000
	v_cmp_lt_u32_e64 s[40:41], v240, v42                       // 000000013828: D0C90028 000255F0
	v_add_u32_e32 v240, 64, v240                               // 000000013830: 69E1E0C0
	s_nop 0                                                    // 000000013834: BF800000
	v_cndmask_b32_e64 v144, v41, v144, s[40:41]                // 000000013838: D1000090 00A32129
	v_cmp_lt_u32_e64 s[40:41], v241, v42                       // 000000013840: D0C90028 000255F1
	v_add_u32_e32 v241, 64, v241                               // 000000013848: 69E3E2C0
	s_nop 0                                                    // 00000001384C: BF800000
	v_cndmask_b32_e64 v145, v41, v145, s[40:41]                // 000000013850: D1000091 00A32329
	v_cmp_lt_u32_e64 s[40:41], v242, v42                       // 000000013858: D0C90028 000255F2
	v_add_u32_e32 v242, 64, v242                               // 000000013860: 69E5E4C0
	s_nop 0                                                    // 000000013864: BF800000
	v_cndmask_b32_e64 v146, v41, v146, s[40:41]                // 000000013868: D1000092 00A32529
	v_cmp_lt_u32_e64 s[40:41], v243, v42                       // 000000013870: D0C90028 000255F3
	v_add_u32_e32 v243, 64, v243                               // 000000013878: 69E7E6C0
	s_nop 0                                                    // 00000001387C: BF800000
	v_cndmask_b32_e64 v147, v41, v147, s[40:41]                // 000000013880: D1000093 00A32729
	v_cmp_lt_u32_e64 s[40:41], v240, v42                       // 000000013888: D0C90028 000255F0
	v_add_u32_e32 v240, 64, v240                               // 000000013890: 69E1E0C0
	s_nop 0                                                    // 000000013894: BF800000
	v_cndmask_b32_e64 v148, v41, v148, s[40:41]                // 000000013898: D1000094 00A32929
	v_cmp_lt_u32_e64 s[40:41], v241, v42                       // 0000000138A0: D0C90028 000255F1
	v_add_u32_e32 v241, 64, v241                               // 0000000138A8: 69E3E2C0
	s_nop 0                                                    // 0000000138AC: BF800000
	v_cndmask_b32_e64 v149, v41, v149, s[40:41]                // 0000000138B0: D1000095 00A32B29
	v_cmp_lt_u32_e64 s[40:41], v242, v42                       // 0000000138B8: D0C90028 000255F2
	v_add_u32_e32 v242, 64, v242                               // 0000000138C0: 69E5E4C0
	s_nop 0                                                    // 0000000138C4: BF800000
	v_cndmask_b32_e64 v150, v41, v150, s[40:41]                // 0000000138C8: D1000096 00A32D29
	v_cmp_lt_u32_e64 s[40:41], v243, v42                       // 0000000138D0: D0C90028 000255F3
	v_add_u32_e32 v243, 64, v243                               // 0000000138D8: 69E7E6C0
	s_nop 0                                                    // 0000000138DC: BF800000
	v_cndmask_b32_e64 v151, v41, v151, s[40:41]                // 0000000138E0: D1000097 00A32F29
	v_cmp_lt_u32_e64 s[40:41], v240, v42                       // 0000000138E8: D0C90028 000255F0
	v_add_u32_e32 v240, 64, v240                               // 0000000138F0: 69E1E0C0
	s_nop 0                                                    // 0000000138F4: BF800000
	v_cndmask_b32_e64 v152, v41, v152, s[40:41]                // 0000000138F8: D1000098 00A33129
	v_cmp_lt_u32_e64 s[40:41], v241, v42                       // 000000013900: D0C90028 000255F1
	v_add_u32_e32 v241, 64, v241                               // 000000013908: 69E3E2C0
	s_nop 0                                                    // 00000001390C: BF800000
	v_cndmask_b32_e64 v153, v41, v153, s[40:41]                // 000000013910: D1000099 00A33329
	v_cmp_lt_u32_e64 s[40:41], v242, v42                       // 000000013918: D0C90028 000255F2
	v_add_u32_e32 v242, 64, v242                               // 000000013920: 69E5E4C0
	s_nop 0                                                    // 000000013924: BF800000
	v_cndmask_b32_e64 v154, v41, v154, s[40:41]                // 000000013928: D100009A 00A33529
	v_cmp_lt_u32_e64 s[40:41], v243, v42                       // 000000013930: D0C90028 000255F3
	v_add_u32_e32 v243, 64, v243                               // 000000013938: 69E7E6C0
	s_nop 0                                                    // 00000001393C: BF800000
	v_cndmask_b32_e64 v155, v41, v155, s[40:41]                // 000000013940: D100009B 00A33729
	v_cmp_lt_u32_e64 s[40:41], v240, v42                       // 000000013948: D0C90028 000255F0
	v_add_u32_e32 v240, 64, v240                               // 000000013950: 69E1E0C0
	s_nop 0                                                    // 000000013954: BF800000
	v_cndmask_b32_e64 v156, v41, v156, s[40:41]                // 000000013958: D100009C 00A33929
	v_cmp_lt_u32_e64 s[40:41], v241, v42                       // 000000013960: D0C90028 000255F1
	v_add_u32_e32 v241, 64, v241                               // 000000013968: 69E3E2C0
	s_nop 0                                                    // 00000001396C: BF800000
	v_cndmask_b32_e64 v157, v41, v157, s[40:41]                // 000000013970: D100009D 00A33B29
	v_cmp_lt_u32_e64 s[40:41], v242, v42                       // 000000013978: D0C90028 000255F2
	v_add_u32_e32 v242, 64, v242                               // 000000013980: 69E5E4C0
	s_nop 0                                                    // 000000013984: BF800000
	v_cndmask_b32_e64 v158, v41, v158, s[40:41]                // 000000013988: D100009E 00A33D29
	v_cmp_lt_u32_e64 s[40:41], v243, v42                       // 000000013990: D0C90028 000255F3
	v_add_u32_e32 v243, 64, v243                               // 000000013998: 69E7E6C0
	s_nop 0                                                    // 00000001399C: BF800000
	v_cndmask_b32_e64 v159, v41, v159, s[40:41]                // 0000000139A0: D100009F 00A33F29
	v_mov_b32_e32 v62, v144                                    // 0000000139A8: 7E7C0390
	v_max3_f32 v62, v144, v145, v62                            // 0000000139AC: D1D3003E 04FB2390
	v_max3_f32 v62, v146, v147, v62                            // 0000000139B4: D1D3003E 04FB2792
	v_max3_f32 v62, v148, v149, v62                            // 0000000139BC: D1D3003E 04FB2B94
	v_max3_f32 v62, v150, v151, v62                            // 0000000139C4: D1D3003E 04FB2F96
	v_max3_f32 v62, v152, v153, v62                            // 0000000139CC: D1D3003E 04FB3398
	v_max3_f32 v62, v154, v155, v62                            // 0000000139D4: D1D3003E 04FB379A
	v_max3_f32 v62, v156, v157, v62                            // 0000000139DC: D1D3003E 04FB3B9C
	v_max3_f32 v62, v158, v159, v62                            // 0000000139E4: D1D3003E 04FB3F9E
	ds_write_b32 v11, v62 offset:16896                         // 0000000139EC: D81A4200 00003E0B
	v_mul_f32_e32 v232, v64, v232                              // 0000000139F4: 0BD1D140
	v_mul_f32_e32 v233, v64, v233                              // 0000000139F8: 0BD3D340
	v_mul_f32_e32 v234, v64, v234                              // 0000000139FC: 0BD5D540
	v_mul_f32_e32 v235, v64, v235                              // 000000013A00: 0BD7D740
	v_mul_f32_e32 v236, v64, v236                              // 000000013A04: 0BD9D940
	v_mul_f32_e32 v237, v64, v237                              // 000000013A08: 0BDBDB40
	v_mul_f32_e32 v238, v64, v238                              // 000000013A0C: 0BDDDD40
	v_mul_f32_e32 v239, v64, v239                              // 000000013A10: 0BDFDF40
	s_waitcnt lgkmcnt(0)                                       // 000000013A14: BF8CC07F
	s_barrier                                                  // 000000013A18: BF8A0000
	ds_read_b32 v80, v10 offset:16896                          // 000000013A1C: D86C4200 5000000A
	ds_read_b32 v81, v10 offset:16960                          // 000000013A24: D86C4240 5100000A
	ds_read_b32 v82, v10 offset:17024                          // 000000013A2C: D86C4280 5200000A
	ds_read_b32 v83, v10 offset:17088                          // 000000013A34: D86C42C0 5300000A
	ds_read_b32 v84, v10 offset:17152                          // 000000013A3C: D86C4300 5400000A
	ds_read_b32 v85, v10 offset:17216                          // 000000013A44: D86C4340 5500000A
	ds_read_b32 v86, v10 offset:17280                          // 000000013A4C: D86C4380 5600000A
	ds_read_b32 v87, v10 offset:17344                          // 000000013A54: D86C43C0 5700000A
	ds_read_b32 v88, v10 offset:17408                          // 000000013A5C: D86C4400 5800000A
	ds_read_b32 v89, v10 offset:17472                          // 000000013A64: D86C4440 5900000A
	ds_read_b32 v90, v10 offset:17536                          // 000000013A6C: D86C4480 5A00000A
	ds_read_b32 v91, v10 offset:17600                          // 000000013A74: D86C44C0 5B00000A
	ds_read_b32 v92, v10 offset:17664                          // 000000013A7C: D86C4500 5C00000A
	ds_read_b32 v93, v10 offset:17728                          // 000000013A84: D86C4540 5D00000A
	ds_read_b32 v94, v10 offset:17792                          // 000000013A8C: D86C4580 5E00000A
	ds_read_b32 v95, v10 offset:17856                          // 000000013A94: D86C45C0 5F00000A
	v_cvt_f32_i32_e32 v200, v200                               // 000000013A9C: 7F900BC8
	v_cvt_f32_i32_e32 v201, v201                               // 000000013AA0: 7F920BC9
	v_cvt_f32_i32_e32 v202, v202                               // 000000013AA4: 7F940BCA
	v_cvt_f32_i32_e32 v203, v203                               // 000000013AA8: 7F960BCB
	v_cvt_f32_i32_e32 v204, v204                               // 000000013AAC: 7F980BCC
	v_cvt_f32_i32_e32 v205, v205                               // 000000013AB0: 7F9A0BCD
	v_cvt_f32_i32_e32 v206, v206                               // 000000013AB4: 7F9C0BCE
	v_cvt_f32_i32_e32 v207, v207                               // 000000013AB8: 7F9E0BCF
	v_mul_f32_e32 v200, v59, v200                              // 000000013ABC: 0B91913B
	v_mul_f32_e32 v201, v59, v201                              // 000000013AC0: 0B93933B
	v_mul_f32_e32 v202, v59, v202                              // 000000013AC4: 0B95953B
	v_mul_f32_e32 v203, v59, v203                              // 000000013AC8: 0B97973B
	v_mul_f32_e32 v204, v59, v204                              // 000000013ACC: 0B99993B
	v_mul_f32_e32 v205, v59, v205                              // 000000013AD0: 0B9B9B3B
	v_mul_f32_e32 v206, v59, v206                              // 000000013AD4: 0B9D9D3B
	v_mul_f32_e32 v207, v59, v207                              // 000000013AD8: 0B9F9F3B
	s_waitcnt lgkmcnt(0)                                       // 000000013ADC: BF8CC07F
	v_max3_f32 v62, v80, v81, v62                              // 000000013AE0: D1D3003E 04FAA350
	v_max3_f32 v62, v82, v83, v62                              // 000000013AE8: D1D3003E 04FAA752
	v_max3_f32 v62, v84, v85, v62                              // 000000013AF0: D1D3003E 04FAAB54
	v_max3_f32 v62, v86, v87, v62                              // 000000013AF8: D1D3003E 04FAAF56
	v_max3_f32 v62, v88, v89, v62                              // 000000013B00: D1D3003E 04FAB358
	v_max3_f32 v62, v90, v91, v62                              // 000000013B08: D1D3003E 04FAB75A
	v_max3_f32 v62, v92, v93, v62                              // 000000013B10: D1D3003E 04FABB5C
	v_max3_f32 v62, v94, v95, v62                              // 000000013B18: D1D3003E 04FABF5E
	v_mov_b32_e32 v41, 0xff800000                              // 000000013B20: 7E5202FF FF800000
	v_cmp_eq_u32_e64 s[40:41], v41, v15                        // 000000013B28: D0CA0028 00021F29
	s_nop 1                                                    // 000000013B30: BF800001
	v_max_f32_e32 v18, v62, v15                                // 000000013B34: 16241F3E
	v_mul_f32_e32 v67, s64, v18                                // 000000013B38: 0A862440
	v_fma_f32 v144, v144, s64, -v67                            // 000000013B3C: D1CB0090 850C8190
	v_fma_f32 v145, v145, s64, -v67                            // 000000013B44: D1CB0091 850C8191
	v_fma_f32 v146, v146, s64, -v67                            // 000000013B4C: D1CB0092 850C8192
	v_fma_f32 v147, v147, s64, -v67                            // 000000013B54: D1CB0093 850C8193
	v_fma_f32 v148, v148, s64, -v67                            // 000000013B5C: D1CB0094 850C8194
	v_fma_f32 v149, v149, s64, -v67                            // 000000013B64: D1CB0095 850C8195
	v_fma_f32 v150, v150, s64, -v67                            // 000000013B6C: D1CB0096 850C8196
	v_fma_f32 v151, v151, s64, -v67                            // 000000013B74: D1CB0097 850C8197
	v_fma_f32 v152, v152, s64, -v67                            // 000000013B7C: D1CB0098 850C8198
	v_fma_f32 v153, v153, s64, -v67                            // 000000013B84: D1CB0099 850C8199
	v_fma_f32 v154, v154, s64, -v67                            // 000000013B8C: D1CB009A 850C819A
	v_fma_f32 v155, v155, s64, -v67                            // 000000013B94: D1CB009B 850C819B
	v_fma_f32 v156, v156, s64, -v67                            // 000000013B9C: D1CB009C 850C819C
	v_fma_f32 v157, v157, s64, -v67                            // 000000013BA4: D1CB009D 850C819D
	v_fma_f32 v158, v158, s64, -v67                            // 000000013BAC: D1CB009E 850C819E
	v_fma_f32 v159, v159, s64, -v67                            // 000000013BB4: D1CB009F 850C819F
	v_exp_f32_e32 v144, v144                                   // 000000013BBC: 7F204190
	v_exp_f32_e32 v145, v145                                   // 000000013BC0: 7F224191
	v_exp_f32_e32 v146, v146                                   // 000000013BC4: 7F244192
	v_exp_f32_e32 v147, v147                                   // 000000013BC8: 7F264193
	v_exp_f32_e32 v148, v148                                   // 000000013BCC: 7F284194
	v_exp_f32_e32 v149, v149                                   // 000000013BD0: 7F2A4195
	v_exp_f32_e32 v150, v150                                   // 000000013BD4: 7F2C4196
	v_exp_f32_e32 v151, v151                                   // 000000013BD8: 7F2E4197
	v_exp_f32_e32 v152, v152                                   // 000000013BDC: 7F304198
	v_exp_f32_e32 v153, v153                                   // 000000013BE0: 7F324199
	v_exp_f32_e32 v154, v154                                   // 000000013BE4: 7F34419A
	v_exp_f32_e32 v155, v155                                   // 000000013BE8: 7F36419B
	v_exp_f32_e32 v156, v156                                   // 000000013BEC: 7F38419C
	v_exp_f32_e32 v157, v157                                   // 000000013BF0: 7F3A419D
	v_exp_f32_e32 v158, v158                                   // 000000013BF4: 7F3C419E
	v_exp_f32_e32 v159, v159                                   // 000000013BF8: 7F3E419F
	v_mul_f32_dpp v240, v252, v144 quad_perm:[0,0,0,0] row_mask:0xf bank_mask:0xf// 000000013BFC: 0BE120FA FF0000FC
	v_mul_f32_dpp v241, v252, v145 quad_perm:[1,1,1,1] row_mask:0xf bank_mask:0xf// 000000013C04: 0BE322FA FF0055FC
	v_mul_f32_dpp v242, v252, v146 quad_perm:[2,2,2,2] row_mask:0xf bank_mask:0xf// 000000013C0C: 0BE524FA FF00AAFC
	v_mul_f32_dpp v243, v252, v147 quad_perm:[3,3,3,3] row_mask:0xf bank_mask:0xf// 000000013C14: 0BE726FA FF00FFFC
	v_mul_f32_dpp v244, v253, v148 quad_perm:[0,0,0,0] row_mask:0xf bank_mask:0xf// 000000013C1C: 0BE928FA FF0000FD
	v_mul_f32_dpp v245, v253, v149 quad_perm:[1,1,1,1] row_mask:0xf bank_mask:0xf// 000000013C24: 0BEB2AFA FF0055FD
	v_mul_f32_dpp v246, v253, v150 quad_perm:[2,2,2,2] row_mask:0xf bank_mask:0xf// 000000013C2C: 0BED2CFA FF00AAFD
	v_mul_f32_dpp v247, v253, v151 quad_perm:[3,3,3,3] row_mask:0xf bank_mask:0xf// 000000013C34: 0BEF2EFA FF00FFFD
	v_mul_f32_dpp v248, v254, v152 quad_perm:[0,0,0,0] row_mask:0xf bank_mask:0xf// 000000013C3C: 0BF130FA FF0000FE
	v_mul_f32_dpp v249, v254, v153 quad_perm:[1,1,1,1] row_mask:0xf bank_mask:0xf// 000000013C44: 0BF332FA FF0055FE
	v_mul_f32_dpp v250, v254, v154 quad_perm:[2,2,2,2] row_mask:0xf bank_mask:0xf// 000000013C4C: 0BF534FA FF00AAFE
	v_mul_f32_dpp v251, v254, v155 quad_perm:[3,3,3,3] row_mask:0xf bank_mask:0xf// 000000013C54: 0BF736FA FF00FFFE
	v_mul_f32_dpp v252, v255, v156 quad_perm:[0,0,0,0] row_mask:0xf bank_mask:0xf// 000000013C5C: 0BF938FA FF0000FF
	v_mul_f32_dpp v253, v255, v157 quad_perm:[1,1,1,1] row_mask:0xf bank_mask:0xf// 000000013C64: 0BFB3AFA FF0055FF
	v_mul_f32_dpp v254, v255, v158 quad_perm:[2,2,2,2] row_mask:0xf bank_mask:0xf// 000000013C6C: 0BFD3CFA FF00AAFF
	v_mul_f32_dpp v255, v255, v159 quad_perm:[3,3,3,3] row_mask:0xf bank_mask:0xf// 000000013C74: 0BFF3EFA FF00FFFF
	v_mov_b32_e32 v62, 0x358637bd                              // 000000013C7C: 7E7C02FF 358637BD
	v_max3_f32 v62, |v240|, |v241|, v62                        // 000000013C84: D1D3033E 04FBE3F0
	v_max3_f32 v62, |v242|, |v243|, v62                        // 000000013C8C: D1D3033E 04FBE7F2
	v_max3_f32 v62, |v244|, |v245|, v62                        // 000000013C94: D1D3033E 04FBEBF4
	v_max3_f32 v62, |v246|, |v247|, v62                        // 000000013C9C: D1D3033E 04FBEFF6
	v_max3_f32 v62, |v248|, |v249|, v62                        // 000000013CA4: D1D3033E 04FBF3F8
	v_max3_f32 v62, |v250|, |v251|, v62                        // 000000013CAC: D1D3033E 04FBF7FA
	v_max3_f32 v62, |v252|, |v253|, v62                        // 000000013CB4: D1D3033E 04FBFBFC
	v_max3_f32 v62, |v254|, |v255|, v62                        // 000000013CBC: D1D3033E 04FBFFFE
	ds_write_b32 v11, v62 offset:20992                         // 000000013CC4: D81A5200 00003E0B
	v_sub_f32_e32 v64, v15, v18                                // 000000013CCC: 0480250F
	v_cndmask_b32_e64 v64, v64, 0, s[40:41]                    // 000000013CD0: D1000040 00A10140
	v_mov_b32_e32 v15, v18                                     // 000000013CD8: 7E1E0312
	v_mul_f32_e32 v64, s64, v64                                // 000000013CDC: 0A808040
	v_exp_f32_e32 v64, v64                                     // 000000013CE0: 7E804140
	s_waitcnt lgkmcnt(0)                                       // 000000013CE4: BF8CC07F
	s_barrier                                                  // 000000013CE8: BF8A0000
	ds_read_b32 v80, v10 offset:20992                          // 000000013CEC: D86C5200 5000000A
	ds_read_b32 v81, v10 offset:21056                          // 000000013CF4: D86C5240 5100000A
	ds_read_b32 v82, v10 offset:21120                          // 000000013CFC: D86C5280 5200000A
	ds_read_b32 v83, v10 offset:21184                          // 000000013D04: D86C52C0 5300000A
	ds_read_b32 v84, v10 offset:21248                          // 000000013D0C: D86C5300 5400000A
	ds_read_b32 v85, v10 offset:21312                          // 000000013D14: D86C5340 5500000A
	ds_read_b32 v86, v10 offset:21376                          // 000000013D1C: D86C5380 5600000A
	ds_read_b32 v87, v10 offset:21440                          // 000000013D24: D86C53C0 5700000A
	ds_read_b32 v88, v10 offset:21504                          // 000000013D2C: D86C5400 5800000A
	ds_read_b32 v89, v10 offset:21568                          // 000000013D34: D86C5440 5900000A
	ds_read_b32 v90, v10 offset:21632                          // 000000013D3C: D86C5480 5A00000A
	ds_read_b32 v91, v10 offset:21696                          // 000000013D44: D86C54C0 5B00000A
	ds_read_b32 v92, v10 offset:21760                          // 000000013D4C: D86C5500 5C00000A
	ds_read_b32 v93, v10 offset:21824                          // 000000013D54: D86C5540 5D00000A
	ds_read_b32 v94, v10 offset:21888                          // 000000013D5C: D86C5580 5E00000A
	ds_read_b32 v95, v10 offset:21952                          // 000000013D64: D86C55C0 5F00000A
	v_mul_f32_e32 v48, v64, v48                                // 000000013D6C: 0A606140
	v_mov_b32_e32 v18, v144                                    // 000000013D70: 7E240390
	v_add_f32_e32 v18, v145, v18                               // 000000013D74: 02242591
	v_add_f32_e32 v18, v146, v18                               // 000000013D78: 02242592
	v_add_f32_e32 v18, v147, v18                               // 000000013D7C: 02242593
	v_add_f32_e32 v18, v148, v18                               // 000000013D80: 02242594
	v_add_f32_e32 v18, v149, v18                               // 000000013D84: 02242595
	v_add_f32_e32 v18, v150, v18                               // 000000013D88: 02242596
	v_add_f32_e32 v18, v151, v18                               // 000000013D8C: 02242597
	v_add_f32_e32 v18, v152, v18                               // 000000013D90: 02242598
	v_add_f32_e32 v18, v153, v18                               // 000000013D94: 02242599
	v_add_f32_e32 v18, v154, v18                               // 000000013D98: 0224259A
	v_add_f32_e32 v18, v155, v18                               // 000000013D9C: 0224259B
	v_add_f32_e32 v18, v156, v18                               // 000000013DA0: 0224259C
	v_add_f32_e32 v18, v157, v18                               // 000000013DA4: 0224259D
	v_add_f32_e32 v18, v158, v18                               // 000000013DA8: 0224259E
	v_add_f32_e32 v18, v159, v18                               // 000000013DAC: 0224259F
	v_add_f32_e32 v48, v18, v48                                // 000000013DB0: 02606112
	s_waitcnt lgkmcnt(0)                                       // 000000013DB4: BF8CC07F
	v_max3_f32 v62, |v80|, |v81|, v62                          // 000000013DB8: D1D3033E 04FAA350
	v_max3_f32 v62, |v82|, |v83|, v62                          // 000000013DC0: D1D3033E 04FAA752
	v_max3_f32 v62, |v84|, |v85|, v62                          // 000000013DC8: D1D3033E 04FAAB54
	v_max3_f32 v62, |v86|, |v87|, v62                          // 000000013DD0: D1D3033E 04FAAF56
	v_max3_f32 v62, |v88|, |v89|, v62                          // 000000013DD8: D1D3033E 04FAB358
	v_max3_f32 v62, |v90|, |v91|, v62                          // 000000013DE0: D1D3033E 04FAB75A
	v_max3_f32 v62, |v92|, |v93|, v62                          // 000000013DE8: D1D3033E 04FABB5C
	v_max3_f32 v62, |v94|, |v95|, v62                          // 000000013DF0: D1D3033E 04FABF5E
	s_nop 2                                                    // 000000013DF8: BF800002
	v_rcp_f32_e32 v62, v62                                     // 000000013DFC: 7E7C453E
	s_nop 1                                                    // 000000013E00: BF800001
	v_mul_f32_e32 v62, 0x42fe0000, v62                         // 000000013E04: 0A7C7CFF 42FE0000
	v_mul_f32_e32 v144, v62, v240                              // 000000013E0C: 0B21E13E
	v_mul_f32_e32 v145, v62, v241                              // 000000013E10: 0B23E33E
	v_mul_f32_e32 v146, v62, v242                              // 000000013E14: 0B25E53E
	v_mul_f32_e32 v147, v62, v243                              // 000000013E18: 0B27E73E
	v_mul_f32_e32 v148, v62, v244                              // 000000013E1C: 0B29E93E
	v_mul_f32_e32 v149, v62, v245                              // 000000013E20: 0B2BEB3E
	v_mul_f32_e32 v150, v62, v246                              // 000000013E24: 0B2DED3E
	v_mul_f32_e32 v151, v62, v247                              // 000000013E28: 0B2FEF3E
	v_mul_f32_e32 v152, v62, v248                              // 000000013E2C: 0B31F13E
	v_mul_f32_e32 v153, v62, v249                              // 000000013E30: 0B33F33E
	v_mul_f32_e32 v154, v62, v250                              // 000000013E34: 0B35F53E
	v_mul_f32_e32 v155, v62, v251                              // 000000013E38: 0B37F73E
	v_mul_f32_e32 v156, v62, v252                              // 000000013E3C: 0B39F93E
	v_mul_f32_e32 v157, v62, v253                              // 000000013E40: 0B3BFB3E
	v_mul_f32_e32 v158, v62, v254                              // 000000013E44: 0B3DFD3E
	v_mul_f32_e32 v159, v62, v255                              // 000000013E48: 0B3FFF3E
	v_cvt_i32_f32_e32 v144, v144                               // 000000013E4C: 7F201190
	v_cvt_i32_f32_e32 v145, v145                               // 000000013E50: 7F221191
	v_cvt_i32_f32_e32 v146, v146                               // 000000013E54: 7F241192
	v_cvt_i32_f32_e32 v147, v147                               // 000000013E58: 7F261193
	v_cvt_i32_f32_e32 v148, v148                               // 000000013E5C: 7F281194
	v_cvt_i32_f32_e32 v149, v149                               // 000000013E60: 7F2A1195
	v_cvt_i32_f32_e32 v150, v150                               // 000000013E64: 7F2C1196
	v_cvt_i32_f32_e32 v151, v151                               // 000000013E68: 7F2E1197
	v_cvt_i32_f32_e32 v152, v152                               // 000000013E6C: 7F301198
	v_cvt_i32_f32_e32 v153, v153                               // 000000013E70: 7F321199
	v_cvt_i32_f32_e32 v154, v154                               // 000000013E74: 7F34119A
	v_cvt_i32_f32_e32 v155, v155                               // 000000013E78: 7F36119B
	v_cvt_i32_f32_e32 v156, v156                               // 000000013E7C: 7F38119C
	v_cvt_i32_f32_e32 v157, v157                               // 000000013E80: 7F3A119D
	v_cvt_i32_f32_e32 v158, v158                               // 000000013E84: 7F3C119E
	v_cvt_i32_f32_e32 v159, v159                               // 000000013E88: 7F3E119F
	v_perm_b32 v144, v145, v144, s53                           // 000000013E8C: D1ED0090 00D72191
	v_perm_b32 v144, v146, v144, s54                           // 000000013E94: D1ED0090 00DB2192
	v_perm_b32 v144, v147, v144, s55                           // 000000013E9C: D1ED0090 00DF2193
	v_perm_b32 v145, v149, v148, s53                           // 000000013EA4: D1ED0091 00D72995
	v_perm_b32 v145, v150, v145, s54                           // 000000013EAC: D1ED0091 00DB2396
	v_perm_b32 v145, v151, v145, s55                           // 000000013EB4: D1ED0091 00DF2397
	v_perm_b32 v146, v153, v152, s53                           // 000000013EBC: D1ED0092 00D73199
	v_perm_b32 v146, v154, v146, s54                           // 000000013EC4: D1ED0092 00DB259A
	v_perm_b32 v146, v155, v146, s55                           // 000000013ECC: D1ED0092 00DF259B
	v_perm_b32 v147, v157, v156, s53                           // 000000013ED4: D1ED0093 00D7399D
	v_perm_b32 v147, v158, v147, s54                           // 000000013EDC: D1ED0093 00DB279E
	v_perm_b32 v147, v159, v147, s55                           // 000000013EE4: D1ED0093 00DF279F
	ds_write_b32 v13, v144 offset:29184                        // 000000013EEC: D81A7200 0000900D
	ds_write_b32 v13, v145 offset:30208                        // 000000013EF4: D81A7600 0000910D
	ds_write_b32 v13, v146 offset:31232                        // 000000013EFC: D81A7A00 0000920D
	ds_write_b32 v13, v147 offset:32256                        // 000000013F04: D81A7E00 0000930D
	v_add_f32_e32 v232, v232, v200                             // 000000013F0C: 03D191E8
	v_add_f32_e32 v233, v233, v201                             // 000000013F10: 03D393E9
	v_add_f32_e32 v234, v234, v202                             // 000000013F14: 03D595EA
	v_add_f32_e32 v235, v235, v203                             // 000000013F18: 03D797EB
	v_add_f32_e32 v236, v236, v204                             // 000000013F1C: 03D999EC
	v_add_f32_e32 v237, v237, v205                             // 000000013F20: 03DB9BED
	v_add_f32_e32 v238, v238, v206                             // 000000013F24: 03DD9DEE
	v_add_f32_e32 v239, v239, v207                             // 000000013F28: 03DF9FEF
	v_rcp_f32_e32 v59, v62                                     // 000000013F2C: 7E76453E
	s_waitcnt lgkmcnt(0)                                       // 000000013F30: BF8CC07F
	s_barrier                                                  // 000000013F34: BF8A0000
	ds_read_b64 v[144:145], v12 offset:29184                   // 000000013F38: D8EC7200 9000000C
	ds_read_b64 v[146:147], v12 offset:29312                   // 000000013F40: D8EC7280 9200000C
	ds_read_b64 v[148:149], v12 offset:30208                   // 000000013F48: D8EC7600 9400000C
	ds_read_b64 v[150:151], v12 offset:30336                   // 000000013F50: D8EC7680 9600000C
	ds_read_b64 v[152:153], v12 offset:31232                   // 000000013F58: D8EC7A00 9800000C
	ds_read_b64 v[154:155], v12 offset:31360                   // 000000013F60: D8EC7A80 9A00000C
	ds_read_b64 v[156:157], v12 offset:32256                   // 000000013F68: D8EC7E00 9C00000C
	ds_read_b64 v[158:159], v12 offset:32384                   // 000000013F70: D8EC7E80 9E00000C
	s_waitcnt vmcnt(0)                                         // 000000013F78: BF8C0F70
	s_barrier                                                  // 000000013F7C: BF8A0000
	v_mfma_i32_16x16x32_i8 v[192:195], a[96:97], v[128:129], 0 // 000000013F80: D3D700C0 0A030160
	v_mfma_i32_16x16x32_i8 v[192:195], a[98:99], v[130:131], v[192:195]// 000000013F88: D3D700C0 0F030562
	v_mfma_i32_16x16x32_i8 v[192:195], a[100:101], v[132:133], v[192:195]// 000000013F90: D3D700C0 0F030964
	v_mfma_i32_16x16x32_i8 v[192:195], a[102:103], v[134:135], v[192:195]// 000000013F98: D3D700C0 0F030D66
	v_mfma_i32_16x16x32_i8 v[192:195], a[104:105], v[136:137], v[192:195]// 000000013FA0: D3D700C0 0F031168
	v_mfma_i32_16x16x32_i8 v[192:195], a[106:107], v[138:139], v[192:195]// 000000013FA8: D3D700C0 0F03156A
	v_mfma_i32_16x16x32_i8 v[192:195], a[108:109], v[140:141], v[192:195]// 000000013FB0: D3D700C0 0F03196C
	v_mfma_i32_16x16x32_i8 v[192:195], a[110:111], v[142:143], v[192:195]// 000000013FB8: D3D700C0 0F031D6E
	v_mfma_i32_16x16x32_i8 v[196:199], a[112:113], v[128:129], 0// 000000013FC0: D3D700C4 0A030170
	v_mfma_i32_16x16x32_i8 v[196:199], a[114:115], v[130:131], v[196:199]// 000000013FC8: D3D700C4 0F130572
	v_mfma_i32_16x16x32_i8 v[196:199], a[116:117], v[132:133], v[196:199]// 000000013FD0: D3D700C4 0F130974
	v_mfma_i32_16x16x32_i8 v[196:199], a[118:119], v[134:135], v[196:199]// 000000013FD8: D3D700C4 0F130D76
	v_mfma_i32_16x16x32_i8 v[196:199], a[120:121], v[136:137], v[196:199]// 000000013FE0: D3D700C4 0F131178
	v_mfma_i32_16x16x32_i8 v[196:199], a[122:123], v[138:139], v[196:199]// 000000013FE8: D3D700C4 0F13157A
	v_mfma_i32_16x16x32_i8 v[196:199], a[124:125], v[140:141], v[196:199]// 000000013FF0: D3D700C4 0F13197C
	v_mfma_i32_16x16x32_i8 v[196:199], a[126:127], v[142:143], v[196:199]// 000000013FF8: D3D700C4 0F131D7E
	v_mfma_i32_16x16x32_i8 v[200:203], a[96:97], v[144:145], 0 // 000000014000: D3D700C8 0A032160
	v_mfma_i32_16x16x32_i8 v[200:203], a[98:99], v[146:147], v[200:203]// 000000014008: D3D700C8 0F232562
	v_mfma_i32_16x16x32_i8 v[200:203], a[100:101], v[148:149], v[200:203]// 000000014010: D3D700C8 0F232964
	v_mfma_i32_16x16x32_i8 v[200:203], a[102:103], v[150:151], v[200:203]// 000000014018: D3D700C8 0F232D66
	v_mfma_i32_16x16x32_i8 v[200:203], a[104:105], v[152:153], v[200:203]// 000000014020: D3D700C8 0F233168
	v_mfma_i32_16x16x32_i8 v[200:203], a[106:107], v[154:155], v[200:203]// 000000014028: D3D700C8 0F23356A
	v_mfma_i32_16x16x32_i8 v[200:203], a[108:109], v[156:157], v[200:203]// 000000014030: D3D700C8 0F23396C
	v_mfma_i32_16x16x32_i8 v[200:203], a[110:111], v[158:159], v[200:203]// 000000014038: D3D700C8 0F233D6E
	v_mfma_i32_16x16x32_i8 v[204:207], a[112:113], v[144:145], 0// 000000014040: D3D700CC 0A032170
	v_mfma_i32_16x16x32_i8 v[204:207], a[114:115], v[146:147], v[204:207]// 000000014048: D3D700CC 0F332572
	v_mfma_i32_16x16x32_i8 v[204:207], a[116:117], v[148:149], v[204:207]// 000000014050: D3D700CC 0F332974
	v_mfma_i32_16x16x32_i8 v[204:207], a[118:119], v[150:151], v[204:207]// 000000014058: D3D700CC 0F332D76
	v_mfma_i32_16x16x32_i8 v[204:207], a[120:121], v[152:153], v[204:207]// 000000014060: D3D700CC 0F333178
	v_mfma_i32_16x16x32_i8 v[204:207], a[122:123], v[154:155], v[204:207]// 000000014068: D3D700CC 0F33357A
	v_mfma_i32_16x16x32_i8 v[204:207], a[124:125], v[156:157], v[204:207]// 000000014070: D3D700CC 0F33397C
	v_mfma_i32_16x16x32_i8 v[204:207], a[126:127], v[158:159], v[204:207]// 000000014078: D3D700CC 0F333D7E
	s_nop 4                                                    // 000000014080: BF800004
	s_branch label_47A2                                        // 000000014084: BF820000

0000000000014088 <label_47A2>:
	s_mov_b32 s60, 0xa0                                        // 000000014088: BEBC00FF 000000A0
	s_cmp_eq_i32 s88, s60                                      // 000000014090: BF003C58
	s_cbranch_scc1 label_493B                                  // 000000014094: BF850195
	v_mul_f32_e32 v224, v63, v224                              // 000000014098: 0BC1C13F
	v_mul_f32_e32 v225, v63, v225                              // 00000001409C: 0BC3C33F
	v_mul_f32_e32 v226, v63, v226                              // 0000000140A0: 0BC5C53F
	v_mul_f32_e32 v227, v63, v227                              // 0000000140A4: 0BC7C73F
	v_mul_f32_e32 v228, v63, v228                              // 0000000140A8: 0BC9C93F
	v_mul_f32_e32 v229, v63, v229                              // 0000000140AC: 0BCBCB3F
	v_mul_f32_e32 v230, v63, v230                              // 0000000140B0: 0BCDCD3F
	v_mul_f32_e32 v231, v63, v231                              // 0000000140B4: 0BCFCF3F
	v_cvt_f32_i32_e32 v192, v192                               // 0000000140B8: 7F800BC0
	v_cvt_f32_i32_e32 v193, v193                               // 0000000140BC: 7F820BC1
	v_cvt_f32_i32_e32 v194, v194                               // 0000000140C0: 7F840BC2
	v_cvt_f32_i32_e32 v195, v195                               // 0000000140C4: 7F860BC3
	v_cvt_f32_i32_e32 v196, v196                               // 0000000140C8: 7F880BC4
	v_cvt_f32_i32_e32 v197, v197                               // 0000000140CC: 7F8A0BC5
	v_cvt_f32_i32_e32 v198, v198                               // 0000000140D0: 7F8C0BC6
	v_cvt_f32_i32_e32 v199, v199                               // 0000000140D4: 7F8E0BC7
	v_mul_f32_e32 v192, v58, v192                              // 0000000140D8: 0B81813A
	v_mul_f32_e32 v193, v58, v193                              // 0000000140DC: 0B83833A
	v_mul_f32_e32 v194, v58, v194                              // 0000000140E0: 0B85853A
	v_mul_f32_e32 v195, v58, v195                              // 0000000140E4: 0B87873A
	v_mul_f32_e32 v196, v58, v196                              // 0000000140E8: 0B89893A
	v_mul_f32_e32 v197, v58, v197                              // 0000000140EC: 0B8B8B3A
	v_mul_f32_e32 v198, v58, v198                              // 0000000140F0: 0B8D8D3A
	v_mul_f32_e32 v199, v58, v199                              // 0000000140F4: 0B8F8F3A
	v_add_f32_e32 v224, v224, v192                             // 0000000140F8: 03C181E0
	v_add_f32_e32 v225, v225, v193                             // 0000000140FC: 03C383E1
	v_add_f32_e32 v226, v226, v194                             // 000000014100: 03C585E2
	v_add_f32_e32 v227, v227, v195                             // 000000014104: 03C787E3
	v_add_f32_e32 v228, v228, v196                             // 000000014108: 03C989E4
	v_add_f32_e32 v229, v229, v197                             // 00000001410C: 03CB8BE5
	v_add_f32_e32 v230, v230, v198                             // 000000014110: 03CD8DE6
	v_add_f32_e32 v231, v231, v199                             // 000000014114: 03CF8FE7
	ds_write_b32 v11, v47 offset:16896                         // 000000014118: D81A4200 00002F0B
	s_waitcnt lgkmcnt(0)                                       // 000000014120: BF8CC07F
	s_barrier                                                  // 000000014124: BF8A0000
	ds_read_b32 v80, v10 offset:16896                          // 000000014128: D86C4200 5000000A
	ds_read_b32 v81, v10 offset:16960                          // 000000014130: D86C4240 5100000A
	ds_read_b32 v82, v10 offset:17024                          // 000000014138: D86C4280 5200000A
	ds_read_b32 v83, v10 offset:17088                          // 000000014140: D86C42C0 5300000A
	ds_read_b32 v84, v10 offset:17152                          // 000000014148: D86C4300 5400000A
	ds_read_b32 v85, v10 offset:17216                          // 000000014150: D86C4340 5500000A
	ds_read_b32 v86, v10 offset:17280                          // 000000014158: D86C4380 5600000A
	ds_read_b32 v87, v10 offset:17344                          // 000000014160: D86C43C0 5700000A
	ds_read_b32 v88, v10 offset:17408                          // 000000014168: D86C4400 5800000A
	ds_read_b32 v89, v10 offset:17472                          // 000000014170: D86C4440 5900000A
	ds_read_b32 v90, v10 offset:17536                          // 000000014178: D86C4480 5A00000A
	ds_read_b32 v91, v10 offset:17600                          // 000000014180: D86C44C0 5B00000A
	ds_read_b32 v92, v10 offset:17664                          // 000000014188: D86C4500 5C00000A
	ds_read_b32 v93, v10 offset:17728                          // 000000014190: D86C4540 5D00000A
	ds_read_b32 v94, v10 offset:17792                          // 000000014198: D86C4580 5E00000A
	ds_read_b32 v95, v10 offset:17856                          // 0000000141A0: D86C45C0 5F00000A
	s_waitcnt lgkmcnt(0)                                       // 0000000141A8: BF8CC07F
	v_mov_b32_e32 v47, 0                                       // 0000000141AC: 7E5E0280
	v_add_f32_e32 v47, v80, v47                                // 0000000141B0: 025E5F50
	v_add_f32_e32 v47, v81, v47                                // 0000000141B4: 025E5F51
	v_add_f32_e32 v47, v82, v47                                // 0000000141B8: 025E5F52
	v_add_f32_e32 v47, v83, v47                                // 0000000141BC: 025E5F53
	v_add_f32_e32 v47, v84, v47                                // 0000000141C0: 025E5F54
	v_add_f32_e32 v47, v85, v47                                // 0000000141C4: 025E5F55
	v_add_f32_e32 v47, v86, v47                                // 0000000141C8: 025E5F56
	v_add_f32_e32 v47, v87, v47                                // 0000000141CC: 025E5F57
	v_add_f32_e32 v47, v88, v47                                // 0000000141D0: 025E5F58
	v_add_f32_e32 v47, v89, v47                                // 0000000141D4: 025E5F59
	v_add_f32_e32 v47, v90, v47                                // 0000000141D8: 025E5F5A
	v_add_f32_e32 v47, v91, v47                                // 0000000141DC: 025E5F5B
	v_add_f32_e32 v47, v92, v47                                // 0000000141E0: 025E5F5C
	v_add_f32_e32 v47, v93, v47                                // 0000000141E4: 025E5F5D
	v_add_f32_e32 v47, v94, v47                                // 0000000141E8: 025E5F5E
	v_add_f32_e32 v47, v95, v47                                // 0000000141EC: 025E5F5F
	s_nop 1                                                    // 0000000141F0: BF800001
	v_rcp_f32_e32 v47, v47                                     // 0000000141F4: 7E5E452F
	s_nop 1                                                    // 0000000141F8: BF800001
	v_mul_f32_e32 v224, v47, v224                              // 0000000141FC: 0BC1C12F
	v_mul_f32_e32 v225, v47, v225                              // 000000014200: 0BC3C32F
	v_mul_f32_e32 v226, v47, v226                              // 000000014204: 0BC5C52F
	v_mul_f32_e32 v227, v47, v227                              // 000000014208: 0BC7C72F
	v_mul_f32_e32 v228, v47, v228                              // 00000001420C: 0BC9C92F
	v_mul_f32_e32 v229, v47, v229                              // 000000014210: 0BCBCB2F
	v_mul_f32_e32 v230, v47, v230                              // 000000014214: 0BCDCD2F
	v_mul_f32_e32 v231, v47, v231                              // 000000014218: 0BCFCF2F
	v_cmp_u_f32_e64 s[40:41], v224, v224                       // 00000001421C: D0480028 0003C1E0
	v_add3_u32 v21, v224, v24, 1                               // 000000014224: D1FF0015 020631E0
	v_cndmask_b32_e64 v41, v21, v23, s[40:41]                  // 00000001422C: D1000029 00A22F15
	v_cmp_u_f32_e64 s[40:41], v225, v225                       // 000000014234: D0480028 0003C3E1
	v_add3_u32 v21, v225, v24, 1                               // 00000001423C: D1FF0015 020631E1
	v_cndmask_b32_e64 v42, v21, v23, s[40:41]                  // 000000014244: D100002A 00A22F15
	v_perm_b32 v224, v42, v41, s52                             // 00000001424C: D1ED00E0 00D2532A
	v_cmp_u_f32_e64 s[40:41], v226, v226                       // 000000014254: D0480028 0003C5E2
	v_add3_u32 v21, v226, v24, 1                               // 00000001425C: D1FF0015 020631E2
	v_cndmask_b32_e64 v41, v21, v23, s[40:41]                  // 000000014264: D1000029 00A22F15
	v_cmp_u_f32_e64 s[40:41], v227, v227                       // 00000001426C: D0480028 0003C7E3
	v_add3_u32 v21, v227, v24, 1                               // 000000014274: D1FF0015 020631E3
	v_cndmask_b32_e64 v42, v21, v23, s[40:41]                  // 00000001427C: D100002A 00A22F15
	v_perm_b32 v225, v42, v41, s52                             // 000000014284: D1ED00E1 00D2532A
	v_cmp_u_f32_e64 s[40:41], v228, v228                       // 00000001428C: D0480028 0003C9E4
	v_add3_u32 v21, v228, v24, 1                               // 000000014294: D1FF0015 020631E4
	v_cndmask_b32_e64 v41, v21, v23, s[40:41]                  // 00000001429C: D1000029 00A22F15
	v_cmp_u_f32_e64 s[40:41], v229, v229                       // 0000000142A4: D0480028 0003CBE5
	v_add3_u32 v21, v229, v24, 1                               // 0000000142AC: D1FF0015 020631E5
	v_cndmask_b32_e64 v42, v21, v23, s[40:41]                  // 0000000142B4: D100002A 00A22F15
	v_perm_b32 v226, v42, v41, s52                             // 0000000142BC: D1ED00E2 00D2532A
	v_cmp_u_f32_e64 s[40:41], v230, v230                       // 0000000142C4: D0480028 0003CDE6
	v_add3_u32 v21, v230, v24, 1                               // 0000000142CC: D1FF0015 020631E6
	v_cndmask_b32_e64 v41, v21, v23, s[40:41]                  // 0000000142D4: D1000029 00A22F15
	v_cmp_u_f32_e64 s[40:41], v231, v231                       // 0000000142DC: D0480028 0003CFE7
	v_add3_u32 v21, v231, v24, 1                               // 0000000142E4: D1FF0015 020631E7
	v_cndmask_b32_e64 v42, v21, v23, s[40:41]                  // 0000000142EC: D100002A 00A22F15
	v_perm_b32 v227, v42, v41, s52                             // 0000000142F4: D1ED00E3 00D2532A
	s_nop 1                                                    // 0000000142FC: BF800001
	v_lshrrev_b32_e32 v41, 4, v0                               // 000000014300: 20520084
	v_mul_i32_i24_e32 v45, 34, v41                             // 000000014304: 0C5A52A2
	v_and_b32_e32 v41, 15, v0                                  // 000000014308: 2652008F
	v_mul_i32_i24_e32 v42, 2, v41                              // 00000001430C: 0C545282
	v_add_u32_e32 v45, v42, v45                                // 000000014310: 685A5B2A
	s_mul_i32 s60, s7, 0x88                                    // 000000014314: 923CFF07 00000088
	v_add_u32_e32 v45, s60, v45                                // 00000001431C: 685A5A3C
	v_lshlrev_b32_e32 v45, 2, v45                              // 000000014320: 245A5A82
	ds_write_b64 v45, v[224:225] offset:41472                  // 000000014324: D89AA200 0000E02D
	ds_write_b64 v45, v[226:227] offset:43648                  // 00000001432C: D89AAA80 0000E22D
	v_lshrrev_b32_e32 v41, 1, v0                               // 000000014334: 20520081
	v_mul_i32_i24_e32 v45, 34, v41                             // 000000014338: 0C5A52A2
	v_and_b32_e32 v42, 1, v0                                   // 00000001433C: 26540081
	v_add_u32_e32 v45, v42, v45                                // 000000014340: 685A5B2A
	s_mul_i32 s60, s7, 2                                       // 000000014344: 923C8207
	v_add_u32_e32 v45, s60, v45                                // 000000014348: 685A5A3C
	v_lshlrev_b32_e32 v45, 2, v45                              // 00000001434C: 245A5A82
	s_waitcnt lgkmcnt(0)                                       // 000000014350: BF8CC07F
	s_barrier                                                  // 000000014354: BF8A0000
	ds_read_b32 v224, v45 offset:41472                         // 000000014358: D86CA200 E000002D
	ds_read_b32 v225, v45 offset:41504                         // 000000014360: D86CA220 E100002D
	ds_read_b32 v226, v45 offset:41536                         // 000000014368: D86CA240 E200002D
	ds_read_b32 v227, v45 offset:41568                         // 000000014370: D86CA260 E300002D
	s_mul_i32 s60, s7, 0x100                                   // 000000014378: 923CFF07 00000100
	v_lshlrev_b32_e32 v41, 2, v0                               // 000000014380: 24520082
	v_add_u32_e64 v41, v41, s60                                // 000000014384: D1340029 00007929
	s_waitcnt lgkmcnt(0)                                       // 00000001438C: BF8CC07F
	buffer_store_dword v224, v41, s[8:11], 0 offen             // 000000014390: E0701000 8002E029
	buffer_store_dword v225, v41, s[8:11], 0 offen offset:1024 // 000000014398: E0701400 8002E129
	s_add_u32 s8, s75, s8                                      // 0000000143A0: 8008084B
	s_addc_u32 s9, 0, s9                                       // 0000000143A4: 82090980
	buffer_store_dword v226, v41, s[8:11], 0 offen             // 0000000143A8: E0701000 8002E229
	buffer_store_dword v227, v41, s[8:11], 0 offen offset:1024 // 0000000143B0: E0701400 8002E329
	s_add_u32 s8, s75, s8                                      // 0000000143B8: 8008084B
	s_addc_u32 s9, 0, s9                                       // 0000000143BC: 82090980
	v_mul_f32_e32 v232, v64, v232                              // 0000000143C0: 0BD1D140
	v_mul_f32_e32 v233, v64, v233                              // 0000000143C4: 0BD3D340
	v_mul_f32_e32 v234, v64, v234                              // 0000000143C8: 0BD5D540
	v_mul_f32_e32 v235, v64, v235                              // 0000000143CC: 0BD7D740
	v_mul_f32_e32 v236, v64, v236                              // 0000000143D0: 0BD9D940
	v_mul_f32_e32 v237, v64, v237                              // 0000000143D4: 0BDBDB40
	v_mul_f32_e32 v238, v64, v238                              // 0000000143D8: 0BDDDD40
	v_mul_f32_e32 v239, v64, v239                              // 0000000143DC: 0BDFDF40
	v_cvt_f32_i32_e32 v200, v200                               // 0000000143E0: 7F900BC8
	v_cvt_f32_i32_e32 v201, v201                               // 0000000143E4: 7F920BC9
	v_cvt_f32_i32_e32 v202, v202                               // 0000000143E8: 7F940BCA
	v_cvt_f32_i32_e32 v203, v203                               // 0000000143EC: 7F960BCB
	v_cvt_f32_i32_e32 v204, v204                               // 0000000143F0: 7F980BCC
	v_cvt_f32_i32_e32 v205, v205                               // 0000000143F4: 7F9A0BCD
	v_cvt_f32_i32_e32 v206, v206                               // 0000000143F8: 7F9C0BCE
	v_cvt_f32_i32_e32 v207, v207                               // 0000000143FC: 7F9E0BCF
	v_mul_f32_e32 v200, v59, v200                              // 000000014400: 0B91913B
	v_mul_f32_e32 v201, v59, v201                              // 000000014404: 0B93933B
	v_mul_f32_e32 v202, v59, v202                              // 000000014408: 0B95953B
	v_mul_f32_e32 v203, v59, v203                              // 00000001440C: 0B97973B
	v_mul_f32_e32 v204, v59, v204                              // 000000014410: 0B99993B
	v_mul_f32_e32 v205, v59, v205                              // 000000014414: 0B9B9B3B
	v_mul_f32_e32 v206, v59, v206                              // 000000014418: 0B9D9D3B
	v_mul_f32_e32 v207, v59, v207                              // 00000001441C: 0B9F9F3B
	v_add_f32_e32 v232, v232, v200                             // 000000014420: 03D191E8
	v_add_f32_e32 v233, v233, v201                             // 000000014424: 03D393E9
	v_add_f32_e32 v234, v234, v202                             // 000000014428: 03D595EA
	v_add_f32_e32 v235, v235, v203                             // 00000001442C: 03D797EB
	v_add_f32_e32 v236, v236, v204                             // 000000014430: 03D999EC
	v_add_f32_e32 v237, v237, v205                             // 000000014434: 03DB9BED
	v_add_f32_e32 v238, v238, v206                             // 000000014438: 03DD9DEE
	v_add_f32_e32 v239, v239, v207                             // 00000001443C: 03DF9FEF
	ds_write_b32 v11, v48 offset:16896                         // 000000014440: D81A4200 0000300B
	s_waitcnt lgkmcnt(0)                                       // 000000014448: BF8CC07F
	s_barrier                                                  // 00000001444C: BF8A0000
	ds_read_b32 v80, v10 offset:16896                          // 000000014450: D86C4200 5000000A
	ds_read_b32 v81, v10 offset:16960                          // 000000014458: D86C4240 5100000A
	ds_read_b32 v82, v10 offset:17024                          // 000000014460: D86C4280 5200000A
	ds_read_b32 v83, v10 offset:17088                          // 000000014468: D86C42C0 5300000A
	ds_read_b32 v84, v10 offset:17152                          // 000000014470: D86C4300 5400000A
	ds_read_b32 v85, v10 offset:17216                          // 000000014478: D86C4340 5500000A
	ds_read_b32 v86, v10 offset:17280                          // 000000014480: D86C4380 5600000A
	ds_read_b32 v87, v10 offset:17344                          // 000000014488: D86C43C0 5700000A
	ds_read_b32 v88, v10 offset:17408                          // 000000014490: D86C4400 5800000A
	ds_read_b32 v89, v10 offset:17472                          // 000000014498: D86C4440 5900000A
	ds_read_b32 v90, v10 offset:17536                          // 0000000144A0: D86C4480 5A00000A
	ds_read_b32 v91, v10 offset:17600                          // 0000000144A8: D86C44C0 5B00000A
	ds_read_b32 v92, v10 offset:17664                          // 0000000144B0: D86C4500 5C00000A
	ds_read_b32 v93, v10 offset:17728                          // 0000000144B8: D86C4540 5D00000A
	ds_read_b32 v94, v10 offset:17792                          // 0000000144C0: D86C4580 5E00000A
	ds_read_b32 v95, v10 offset:17856                          // 0000000144C8: D86C45C0 5F00000A
	s_waitcnt lgkmcnt(0)                                       // 0000000144D0: BF8CC07F
	v_mov_b32_e32 v48, 0                                       // 0000000144D4: 7E600280
	v_add_f32_e32 v48, v80, v48                                // 0000000144D8: 02606150
	v_add_f32_e32 v48, v81, v48                                // 0000000144DC: 02606151
	v_add_f32_e32 v48, v82, v48                                // 0000000144E0: 02606152
	v_add_f32_e32 v48, v83, v48                                // 0000000144E4: 02606153
	v_add_f32_e32 v48, v84, v48                                // 0000000144E8: 02606154
	v_add_f32_e32 v48, v85, v48                                // 0000000144EC: 02606155
	v_add_f32_e32 v48, v86, v48                                // 0000000144F0: 02606156
	v_add_f32_e32 v48, v87, v48                                // 0000000144F4: 02606157
	v_add_f32_e32 v48, v88, v48                                // 0000000144F8: 02606158
	v_add_f32_e32 v48, v89, v48                                // 0000000144FC: 02606159
	v_add_f32_e32 v48, v90, v48                                // 000000014500: 0260615A
	v_add_f32_e32 v48, v91, v48                                // 000000014504: 0260615B
	v_add_f32_e32 v48, v92, v48                                // 000000014508: 0260615C
	v_add_f32_e32 v48, v93, v48                                // 00000001450C: 0260615D
	v_add_f32_e32 v48, v94, v48                                // 000000014510: 0260615E
	v_add_f32_e32 v48, v95, v48                                // 000000014514: 0260615F
	s_nop 1                                                    // 000000014518: BF800001
	v_rcp_f32_e32 v48, v48                                     // 00000001451C: 7E604530
	s_nop 1                                                    // 000000014520: BF800001
	v_mul_f32_e32 v232, v48, v232                              // 000000014524: 0BD1D130
	v_mul_f32_e32 v233, v48, v233                              // 000000014528: 0BD3D330
	v_mul_f32_e32 v234, v48, v234                              // 00000001452C: 0BD5D530
	v_mul_f32_e32 v235, v48, v235                              // 000000014530: 0BD7D730
	v_mul_f32_e32 v236, v48, v236                              // 000000014534: 0BD9D930
	v_mul_f32_e32 v237, v48, v237                              // 000000014538: 0BDBDB30
	v_mul_f32_e32 v238, v48, v238                              // 00000001453C: 0BDDDD30
	v_mul_f32_e32 v239, v48, v239                              // 000000014540: 0BDFDF30
	v_cmp_u_f32_e64 s[40:41], v232, v232                       // 000000014544: D0480028 0003D1E8
	v_add3_u32 v21, v232, v24, 1                               // 00000001454C: D1FF0015 020631E8
	v_cndmask_b32_e64 v41, v21, v23, s[40:41]                  // 000000014554: D1000029 00A22F15
	v_cmp_u_f32_e64 s[40:41], v233, v233                       // 00000001455C: D0480028 0003D3E9
	v_add3_u32 v21, v233, v24, 1                               // 000000014564: D1FF0015 020631E9
	v_cndmask_b32_e64 v42, v21, v23, s[40:41]                  // 00000001456C: D100002A 00A22F15
	v_perm_b32 v232, v42, v41, s52                             // 000000014574: D1ED00E8 00D2532A
	v_cmp_u_f32_e64 s[40:41], v234, v234                       // 00000001457C: D0480028 0003D5EA
	v_add3_u32 v21, v234, v24, 1                               // 000000014584: D1FF0015 020631EA
	v_cndmask_b32_e64 v41, v21, v23, s[40:41]                  // 00000001458C: D1000029 00A22F15
	v_cmp_u_f32_e64 s[40:41], v235, v235                       // 000000014594: D0480028 0003D7EB
	v_add3_u32 v21, v235, v24, 1                               // 00000001459C: D1FF0015 020631EB
	v_cndmask_b32_e64 v42, v21, v23, s[40:41]                  // 0000000145A4: D100002A 00A22F15
	v_perm_b32 v233, v42, v41, s52                             // 0000000145AC: D1ED00E9 00D2532A
	v_cmp_u_f32_e64 s[40:41], v236, v236                       // 0000000145B4: D0480028 0003D9EC
	v_add3_u32 v21, v236, v24, 1                               // 0000000145BC: D1FF0015 020631EC
	v_cndmask_b32_e64 v41, v21, v23, s[40:41]                  // 0000000145C4: D1000029 00A22F15
	v_cmp_u_f32_e64 s[40:41], v237, v237                       // 0000000145CC: D0480028 0003DBED
	v_add3_u32 v21, v237, v24, 1                               // 0000000145D4: D1FF0015 020631ED
	v_cndmask_b32_e64 v42, v21, v23, s[40:41]                  // 0000000145DC: D100002A 00A22F15
	v_perm_b32 v234, v42, v41, s52                             // 0000000145E4: D1ED00EA 00D2532A
	v_cmp_u_f32_e64 s[40:41], v238, v238                       // 0000000145EC: D0480028 0003DDEE
	v_add3_u32 v21, v238, v24, 1                               // 0000000145F4: D1FF0015 020631EE
	v_cndmask_b32_e64 v41, v21, v23, s[40:41]                  // 0000000145FC: D1000029 00A22F15
	v_cmp_u_f32_e64 s[40:41], v239, v239                       // 000000014604: D0480028 0003DFEF
	v_add3_u32 v21, v239, v24, 1                               // 00000001460C: D1FF0015 020631EF
	v_cndmask_b32_e64 v42, v21, v23, s[40:41]                  // 000000014614: D100002A 00A22F15
	v_perm_b32 v235, v42, v41, s52                             // 00000001461C: D1ED00EB 00D2532A
	s_nop 1                                                    // 000000014624: BF800001
	v_lshrrev_b32_e32 v41, 4, v0                               // 000000014628: 20520084
	v_mul_i32_i24_e32 v45, 34, v41                             // 00000001462C: 0C5A52A2
	v_and_b32_e32 v41, 15, v0                                  // 000000014630: 2652008F
	v_mul_i32_i24_e32 v42, 2, v41                              // 000000014634: 0C545282
	v_add_u32_e32 v45, v42, v45                                // 000000014638: 685A5B2A
	s_mul_i32 s60, s7, 0x88                                    // 00000001463C: 923CFF07 00000088
	v_add_u32_e32 v45, s60, v45                                // 000000014644: 685A5A3C
	v_lshlrev_b32_e32 v45, 2, v45                              // 000000014648: 245A5A82
	ds_write_b64 v45, v[232:233] offset:41472                  // 00000001464C: D89AA200 0000E82D
	ds_write_b64 v45, v[234:235] offset:43648                  // 000000014654: D89AAA80 0000EA2D
	v_lshrrev_b32_e32 v41, 1, v0                               // 00000001465C: 20520081
	v_mul_i32_i24_e32 v45, 34, v41                             // 000000014660: 0C5A52A2
	v_and_b32_e32 v42, 1, v0                                   // 000000014664: 26540081
	v_add_u32_e32 v45, v42, v45                                // 000000014668: 685A5B2A
	s_mul_i32 s60, s7, 2                                       // 00000001466C: 923C8207
	v_add_u32_e32 v45, s60, v45                                // 000000014670: 685A5A3C
	v_lshlrev_b32_e32 v45, 2, v45                              // 000000014674: 245A5A82
	s_waitcnt lgkmcnt(0)                                       // 000000014678: BF8CC07F
	s_barrier                                                  // 00000001467C: BF8A0000
	ds_read_b32 v232, v45 offset:41472                         // 000000014680: D86CA200 E800002D
	ds_read_b32 v233, v45 offset:41504                         // 000000014688: D86CA220 E900002D
	ds_read_b32 v234, v45 offset:41536                         // 000000014690: D86CA240 EA00002D
	ds_read_b32 v235, v45 offset:41568                         // 000000014698: D86CA260 EB00002D
	s_mul_i32 s60, s7, 0x100                                   // 0000000146A0: 923CFF07 00000100
	v_lshlrev_b32_e32 v41, 2, v0                               // 0000000146A8: 24520082
	v_add_u32_e64 v41, v41, s60                                // 0000000146AC: D1340029 00007929
	s_waitcnt lgkmcnt(0)                                       // 0000000146B4: BF8CC07F
	buffer_store_dword v232, v41, s[8:11], 0 offen             // 0000000146B8: E0701000 8002E829
	buffer_store_dword v233, v41, s[8:11], 0 offen offset:1024 // 0000000146C0: E0701400 8002E929
	s_add_u32 s8, s75, s8                                      // 0000000146C8: 8008084B
	s_addc_u32 s9, 0, s9                                       // 0000000146CC: 82090980
	buffer_store_dword v234, v41, s[8:11], 0 offen             // 0000000146D0: E0701000 8002EA29
	buffer_store_dword v235, v41, s[8:11], 0 offen offset:1024 // 0000000146D8: E0701400 8002EB29
	s_add_u32 s8, s75, s8                                      // 0000000146E0: 8008084B
	s_addc_u32 s9, 0, s9                                       // 0000000146E4: 82090980
	s_branch label_4AC6                                        // 0000000146E8: BF82018B

00000000000146ec <label_493B>:
	v_mul_f32_e32 v224, v63, v224                              // 0000000146EC: 0BC1C13F
	v_mul_f32_e32 v225, v63, v225                              // 0000000146F0: 0BC3C33F
	v_mul_f32_e32 v226, v63, v226                              // 0000000146F4: 0BC5C53F
	v_mul_f32_e32 v227, v63, v227                              // 0000000146F8: 0BC7C73F
	v_mul_f32_e32 v228, v63, v228                              // 0000000146FC: 0BC9C93F
	v_mul_f32_e32 v229, v63, v229                              // 000000014700: 0BCBCB3F
	v_mul_f32_e32 v230, v63, v230                              // 000000014704: 0BCDCD3F
	v_mul_f32_e32 v231, v63, v231                              // 000000014708: 0BCFCF3F
	v_cvt_f32_i32_e32 v192, v192                               // 00000001470C: 7F800BC0
	v_cvt_f32_i32_e32 v193, v193                               // 000000014710: 7F820BC1
	v_cvt_f32_i32_e32 v194, v194                               // 000000014714: 7F840BC2
	v_cvt_f32_i32_e32 v195, v195                               // 000000014718: 7F860BC3
	v_cvt_f32_i32_e32 v196, v196                               // 00000001471C: 7F880BC4
	v_cvt_f32_i32_e32 v197, v197                               // 000000014720: 7F8A0BC5
	v_cvt_f32_i32_e32 v198, v198                               // 000000014724: 7F8C0BC6
	v_cvt_f32_i32_e32 v199, v199                               // 000000014728: 7F8E0BC7
	v_mul_f32_e32 v192, v58, v192                              // 00000001472C: 0B81813A
	v_mul_f32_e32 v193, v58, v193                              // 000000014730: 0B83833A
	v_mul_f32_e32 v194, v58, v194                              // 000000014734: 0B85853A
	v_mul_f32_e32 v195, v58, v195                              // 000000014738: 0B87873A
	v_mul_f32_e32 v196, v58, v196                              // 00000001473C: 0B89893A
	v_mul_f32_e32 v197, v58, v197                              // 000000014740: 0B8B8B3A
	v_mul_f32_e32 v198, v58, v198                              // 000000014744: 0B8D8D3A
	v_mul_f32_e32 v199, v58, v199                              // 000000014748: 0B8F8F3A
	v_add_f32_e32 v224, v224, v192                             // 00000001474C: 03C181E0
	v_add_f32_e32 v225, v225, v193                             // 000000014750: 03C383E1
	v_add_f32_e32 v226, v226, v194                             // 000000014754: 03C585E2
	v_add_f32_e32 v227, v227, v195                             // 000000014758: 03C787E3
	v_add_f32_e32 v228, v228, v196                             // 00000001475C: 03C989E4
	v_add_f32_e32 v229, v229, v197                             // 000000014760: 03CB8BE5
	v_add_f32_e32 v230, v230, v198                             // 000000014764: 03CD8DE6
	v_add_f32_e32 v231, v231, v199                             // 000000014768: 03CF8FE7
	ds_write_b32 v11, v47 offset:16896                         // 00000001476C: D81A4200 00002F0B
	s_waitcnt lgkmcnt(0)                                       // 000000014774: BF8CC07F
	s_barrier                                                  // 000000014778: BF8A0000
	ds_read_b32 v80, v10 offset:16896                          // 00000001477C: D86C4200 5000000A
	ds_read_b32 v81, v10 offset:16960                          // 000000014784: D86C4240 5100000A
	ds_read_b32 v82, v10 offset:17024                          // 00000001478C: D86C4280 5200000A
	ds_read_b32 v83, v10 offset:17088                          // 000000014794: D86C42C0 5300000A
	ds_read_b32 v84, v10 offset:17152                          // 00000001479C: D86C4300 5400000A
	ds_read_b32 v85, v10 offset:17216                          // 0000000147A4: D86C4340 5500000A
	ds_read_b32 v86, v10 offset:17280                          // 0000000147AC: D86C4380 5600000A
	ds_read_b32 v87, v10 offset:17344                          // 0000000147B4: D86C43C0 5700000A
	ds_read_b32 v88, v10 offset:17408                          // 0000000147BC: D86C4400 5800000A
	ds_read_b32 v89, v10 offset:17472                          // 0000000147C4: D86C4440 5900000A
	ds_read_b32 v90, v10 offset:17536                          // 0000000147CC: D86C4480 5A00000A
	ds_read_b32 v91, v10 offset:17600                          // 0000000147D4: D86C44C0 5B00000A
	ds_read_b32 v92, v10 offset:17664                          // 0000000147DC: D86C4500 5C00000A
	ds_read_b32 v93, v10 offset:17728                          // 0000000147E4: D86C4540 5D00000A
	ds_read_b32 v94, v10 offset:17792                          // 0000000147EC: D86C4580 5E00000A
	ds_read_b32 v95, v10 offset:17856                          // 0000000147F4: D86C45C0 5F00000A
	s_waitcnt lgkmcnt(0)                                       // 0000000147FC: BF8CC07F
	v_mov_b32_e32 v47, 0                                       // 000000014800: 7E5E0280
	v_add_f32_e32 v47, v80, v47                                // 000000014804: 025E5F50
	v_add_f32_e32 v47, v81, v47                                // 000000014808: 025E5F51
	v_add_f32_e32 v47, v82, v47                                // 00000001480C: 025E5F52
	v_add_f32_e32 v47, v83, v47                                // 000000014810: 025E5F53
	v_add_f32_e32 v47, v84, v47                                // 000000014814: 025E5F54
	v_add_f32_e32 v47, v85, v47                                // 000000014818: 025E5F55
	v_add_f32_e32 v47, v86, v47                                // 00000001481C: 025E5F56
	v_add_f32_e32 v47, v87, v47                                // 000000014820: 025E5F57
	v_add_f32_e32 v47, v88, v47                                // 000000014824: 025E5F58
	v_add_f32_e32 v47, v89, v47                                // 000000014828: 025E5F59
	v_add_f32_e32 v47, v90, v47                                // 00000001482C: 025E5F5A
	v_add_f32_e32 v47, v91, v47                                // 000000014830: 025E5F5B
	v_add_f32_e32 v47, v92, v47                                // 000000014834: 025E5F5C
	v_add_f32_e32 v47, v93, v47                                // 000000014838: 025E5F5D
	v_add_f32_e32 v47, v94, v47                                // 00000001483C: 025E5F5E
	v_add_f32_e32 v47, v95, v47                                // 000000014840: 025E5F5F
	s_nop 1                                                    // 000000014844: BF800001
	v_rcp_f32_e32 v47, v47                                     // 000000014848: 7E5E452F
	s_nop 1                                                    // 00000001484C: BF800001
	v_mul_f32_e32 v224, v47, v224                              // 000000014850: 0BC1C12F
	v_mul_f32_e32 v225, v47, v225                              // 000000014854: 0BC3C32F
	v_mul_f32_e32 v226, v47, v226                              // 000000014858: 0BC5C52F
	v_mul_f32_e32 v227, v47, v227                              // 00000001485C: 0BC7C72F
	v_mul_f32_e32 v228, v47, v228                              // 000000014860: 0BC9C92F
	v_mul_f32_e32 v229, v47, v229                              // 000000014864: 0BCBCB2F
	v_mul_f32_e32 v230, v47, v230                              // 000000014868: 0BCDCD2F
	v_mul_f32_e32 v231, v47, v231                              // 00000001486C: 0BCFCF2F
	v_cmp_u_f32_e64 s[40:41], v224, v224                       // 000000014870: D0480028 0003C1E0
	v_add3_u32 v21, v224, v24, 1                               // 000000014878: D1FF0015 020631E0
	v_cndmask_b32_e64 v41, v21, v23, s[40:41]                  // 000000014880: D1000029 00A22F15
	v_cmp_u_f32_e64 s[40:41], v225, v225                       // 000000014888: D0480028 0003C3E1
	v_add3_u32 v21, v225, v24, 1                               // 000000014890: D1FF0015 020631E1
	v_cndmask_b32_e64 v42, v21, v23, s[40:41]                  // 000000014898: D100002A 00A22F15
	v_perm_b32 v224, v42, v41, s52                             // 0000000148A0: D1ED00E0 00D2532A
	v_cmp_u_f32_e64 s[40:41], v226, v226                       // 0000000148A8: D0480028 0003C5E2
	v_add3_u32 v21, v226, v24, 1                               // 0000000148B0: D1FF0015 020631E2
	v_cndmask_b32_e64 v41, v21, v23, s[40:41]                  // 0000000148B8: D1000029 00A22F15
	v_cmp_u_f32_e64 s[40:41], v227, v227                       // 0000000148C0: D0480028 0003C7E3
	v_add3_u32 v21, v227, v24, 1                               // 0000000148C8: D1FF0015 020631E3
	v_cndmask_b32_e64 v42, v21, v23, s[40:41]                  // 0000000148D0: D100002A 00A22F15
	v_perm_b32 v225, v42, v41, s52                             // 0000000148D8: D1ED00E1 00D2532A
	v_cmp_u_f32_e64 s[40:41], v228, v228                       // 0000000148E0: D0480028 0003C9E4
	v_add3_u32 v21, v228, v24, 1                               // 0000000148E8: D1FF0015 020631E4
	v_cndmask_b32_e64 v41, v21, v23, s[40:41]                  // 0000000148F0: D1000029 00A22F15
	v_cmp_u_f32_e64 s[40:41], v229, v229                       // 0000000148F8: D0480028 0003CBE5
	v_add3_u32 v21, v229, v24, 1                               // 000000014900: D1FF0015 020631E5
	v_cndmask_b32_e64 v42, v21, v23, s[40:41]                  // 000000014908: D100002A 00A22F15
	v_perm_b32 v226, v42, v41, s52                             // 000000014910: D1ED00E2 00D2532A
	v_cmp_u_f32_e64 s[40:41], v230, v230                       // 000000014918: D0480028 0003CDE6
	v_add3_u32 v21, v230, v24, 1                               // 000000014920: D1FF0015 020631E6
	v_cndmask_b32_e64 v41, v21, v23, s[40:41]                  // 000000014928: D1000029 00A22F15
	v_cmp_u_f32_e64 s[40:41], v231, v231                       // 000000014930: D0480028 0003CFE7
	v_add3_u32 v21, v231, v24, 1                               // 000000014938: D1FF0015 020631E7
	v_cndmask_b32_e64 v42, v21, v23, s[40:41]                  // 000000014940: D100002A 00A22F15
	v_perm_b32 v227, v42, v41, s52                             // 000000014948: D1ED00E3 00D2532A
	s_nop 1                                                    // 000000014950: BF800001
	v_lshrrev_b32_e32 v41, 4, v0                               // 000000014954: 20520084
	v_mul_i32_i24_e32 v45, 34, v41                             // 000000014958: 0C5A52A2
	v_and_b32_e32 v41, 15, v0                                  // 00000001495C: 2652008F
	v_mul_i32_i24_e32 v42, 2, v41                              // 000000014960: 0C545282
	v_add_u32_e32 v45, v42, v45                                // 000000014964: 685A5B2A
	s_mul_i32 s60, s7, 0x88                                    // 000000014968: 923CFF07 00000088
	v_add_u32_e32 v45, s60, v45                                // 000000014970: 685A5A3C
	v_lshlrev_b32_e32 v45, 2, v45                              // 000000014974: 245A5A82
	ds_write_b64 v45, v[224:225] offset:41472                  // 000000014978: D89AA200 0000E02D
	ds_write_b64 v45, v[226:227] offset:43648                  // 000000014980: D89AAA80 0000E22D
	v_lshrrev_b32_e32 v41, 1, v0                               // 000000014988: 20520081
	v_mul_i32_i24_e32 v45, 34, v41                             // 00000001498C: 0C5A52A2
	v_and_b32_e32 v42, 1, v0                                   // 000000014990: 26540081
	v_add_u32_e32 v45, v42, v45                                // 000000014994: 685A5B2A
	s_mul_i32 s60, s7, 2                                       // 000000014998: 923C8207
	v_add_u32_e32 v45, s60, v45                                // 00000001499C: 685A5A3C
	v_lshlrev_b32_e32 v45, 2, v45                              // 0000000149A0: 245A5A82
	s_waitcnt lgkmcnt(0)                                       // 0000000149A4: BF8CC07F
	s_barrier                                                  // 0000000149A8: BF8A0000
	ds_read_b32 v224, v45 offset:41472                         // 0000000149AC: D86CA200 E000002D
	ds_read_b32 v225, v45 offset:41504                         // 0000000149B4: D86CA220 E100002D
	ds_read_b32 v226, v45 offset:41536                         // 0000000149BC: D86CA240 E200002D
	ds_read_b32 v227, v45 offset:41568                         // 0000000149C4: D86CA260 E300002D
	s_mul_i32 s60, s7, 0x100                                   // 0000000149CC: 923CFF07 00000100
	v_lshlrev_b32_e32 v41, 2, v0                               // 0000000149D4: 24520082
	v_add_u32_e64 v41, v41, s60                                // 0000000149D8: D1340029 00007929
	s_waitcnt lgkmcnt(0)                                       // 0000000149E0: BF8CC07F
	buffer_store_dword v224, v41, s[8:11], 0 offen             // 0000000149E4: E0701000 8002E029
	buffer_store_dword v225, v41, s[8:11], 0 offen offset:1024 // 0000000149EC: E0701400 8002E129
	s_add_u32 s8, s75, s8                                      // 0000000149F4: 8008084B
	s_addc_u32 s9, 0, s9                                       // 0000000149F8: 82090980
	buffer_store_dword v226, v41, s[8:11], 0 offen             // 0000000149FC: E0701000 8002E229
	buffer_store_dword v227, v41, s[8:11], 0 offen offset:1024 // 000000014A04: E0701400 8002E329
	s_add_u32 s8, s75, s8                                      // 000000014A0C: 8008084B
	s_addc_u32 s9, 0, s9                                       // 000000014A10: 82090980
	v_mul_f32_e32 v232, v64, v232                              // 000000014A14: 0BD1D140
	v_mul_f32_e32 v233, v64, v233                              // 000000014A18: 0BD3D340
	v_mul_f32_e32 v234, v64, v234                              // 000000014A1C: 0BD5D540
	v_mul_f32_e32 v235, v64, v235                              // 000000014A20: 0BD7D740
	v_mul_f32_e32 v236, v64, v236                              // 000000014A24: 0BD9D940
	v_mul_f32_e32 v237, v64, v237                              // 000000014A28: 0BDBDB40
	v_mul_f32_e32 v238, v64, v238                              // 000000014A2C: 0BDDDD40
	v_mul_f32_e32 v239, v64, v239                              // 000000014A30: 0BDFDF40
	v_cvt_f32_i32_e32 v200, v200                               // 000000014A34: 7F900BC8
	v_cvt_f32_i32_e32 v201, v201                               // 000000014A38: 7F920BC9
	v_cvt_f32_i32_e32 v202, v202                               // 000000014A3C: 7F940BCA
	v_cvt_f32_i32_e32 v203, v203                               // 000000014A40: 7F960BCB
	v_cvt_f32_i32_e32 v204, v204                               // 000000014A44: 7F980BCC
	v_cvt_f32_i32_e32 v205, v205                               // 000000014A48: 7F9A0BCD
	v_cvt_f32_i32_e32 v206, v206                               // 000000014A4C: 7F9C0BCE
	v_cvt_f32_i32_e32 v207, v207                               // 000000014A50: 7F9E0BCF
	v_mul_f32_e32 v200, v59, v200                              // 000000014A54: 0B91913B
	v_mul_f32_e32 v201, v59, v201                              // 000000014A58: 0B93933B
	v_mul_f32_e32 v202, v59, v202                              // 000000014A5C: 0B95953B
	v_mul_f32_e32 v203, v59, v203                              // 000000014A60: 0B97973B
	v_mul_f32_e32 v204, v59, v204                              // 000000014A64: 0B99993B
	v_mul_f32_e32 v205, v59, v205                              // 000000014A68: 0B9B9B3B
	v_mul_f32_e32 v206, v59, v206                              // 000000014A6C: 0B9D9D3B
	v_mul_f32_e32 v207, v59, v207                              // 000000014A70: 0B9F9F3B
	v_add_f32_e32 v232, v232, v200                             // 000000014A74: 03D191E8
	v_add_f32_e32 v233, v233, v201                             // 000000014A78: 03D393E9
	v_add_f32_e32 v234, v234, v202                             // 000000014A7C: 03D595EA
	v_add_f32_e32 v235, v235, v203                             // 000000014A80: 03D797EB
	v_add_f32_e32 v236, v236, v204                             // 000000014A84: 03D999EC
	v_add_f32_e32 v237, v237, v205                             // 000000014A88: 03DB9BED
	v_add_f32_e32 v238, v238, v206                             // 000000014A8C: 03DD9DEE
	v_add_f32_e32 v239, v239, v207                             // 000000014A90: 03DF9FEF
	ds_write_b32 v11, v48 offset:16896                         // 000000014A94: D81A4200 0000300B
	s_waitcnt lgkmcnt(0)                                       // 000000014A9C: BF8CC07F
	s_barrier                                                  // 000000014AA0: BF8A0000
	ds_read_b32 v80, v10 offset:16896                          // 000000014AA4: D86C4200 5000000A
	ds_read_b32 v81, v10 offset:16960                          // 000000014AAC: D86C4240 5100000A
	ds_read_b32 v82, v10 offset:17024                          // 000000014AB4: D86C4280 5200000A
	ds_read_b32 v83, v10 offset:17088                          // 000000014ABC: D86C42C0 5300000A
	ds_read_b32 v84, v10 offset:17152                          // 000000014AC4: D86C4300 5400000A
	ds_read_b32 v85, v10 offset:17216                          // 000000014ACC: D86C4340 5500000A
	ds_read_b32 v86, v10 offset:17280                          // 000000014AD4: D86C4380 5600000A
	ds_read_b32 v87, v10 offset:17344                          // 000000014ADC: D86C43C0 5700000A
	ds_read_b32 v88, v10 offset:17408                          // 000000014AE4: D86C4400 5800000A
	ds_read_b32 v89, v10 offset:17472                          // 000000014AEC: D86C4440 5900000A
	ds_read_b32 v90, v10 offset:17536                          // 000000014AF4: D86C4480 5A00000A
	ds_read_b32 v91, v10 offset:17600                          // 000000014AFC: D86C44C0 5B00000A
	ds_read_b32 v92, v10 offset:17664                          // 000000014B04: D86C4500 5C00000A
	ds_read_b32 v93, v10 offset:17728                          // 000000014B0C: D86C4540 5D00000A
	ds_read_b32 v94, v10 offset:17792                          // 000000014B14: D86C4580 5E00000A
	ds_read_b32 v95, v10 offset:17856                          // 000000014B1C: D86C45C0 5F00000A
	s_waitcnt lgkmcnt(0)                                       // 000000014B24: BF8CC07F
	v_mov_b32_e32 v48, 0                                       // 000000014B28: 7E600280
	v_add_f32_e32 v48, v80, v48                                // 000000014B2C: 02606150
	v_add_f32_e32 v48, v81, v48                                // 000000014B30: 02606151
	v_add_f32_e32 v48, v82, v48                                // 000000014B34: 02606152
	v_add_f32_e32 v48, v83, v48                                // 000000014B38: 02606153
	v_add_f32_e32 v48, v84, v48                                // 000000014B3C: 02606154
	v_add_f32_e32 v48, v85, v48                                // 000000014B40: 02606155
	v_add_f32_e32 v48, v86, v48                                // 000000014B44: 02606156
	v_add_f32_e32 v48, v87, v48                                // 000000014B48: 02606157
	v_add_f32_e32 v48, v88, v48                                // 000000014B4C: 02606158
	v_add_f32_e32 v48, v89, v48                                // 000000014B50: 02606159
	v_add_f32_e32 v48, v90, v48                                // 000000014B54: 0260615A
	v_add_f32_e32 v48, v91, v48                                // 000000014B58: 0260615B
	v_add_f32_e32 v48, v92, v48                                // 000000014B5C: 0260615C
	v_add_f32_e32 v48, v93, v48                                // 000000014B60: 0260615D
	v_add_f32_e32 v48, v94, v48                                // 000000014B64: 0260615E
	v_add_f32_e32 v48, v95, v48                                // 000000014B68: 0260615F
	s_nop 1                                                    // 000000014B6C: BF800001
	v_rcp_f32_e32 v48, v48                                     // 000000014B70: 7E604530
	s_nop 1                                                    // 000000014B74: BF800001
	v_mul_f32_e32 v232, v48, v232                              // 000000014B78: 0BD1D130
	v_mul_f32_e32 v233, v48, v233                              // 000000014B7C: 0BD3D330
	v_mul_f32_e32 v234, v48, v234                              // 000000014B80: 0BD5D530
	v_mul_f32_e32 v235, v48, v235                              // 000000014B84: 0BD7D730
	v_mul_f32_e32 v236, v48, v236                              // 000000014B88: 0BD9D930
	v_mul_f32_e32 v237, v48, v237                              // 000000014B8C: 0BDBDB30
	v_mul_f32_e32 v238, v48, v238                              // 000000014B90: 0BDDDD30
	v_mul_f32_e32 v239, v48, v239                              // 000000014B94: 0BDFDF30
	v_cmp_u_f32_e64 s[40:41], v232, v232                       // 000000014B98: D0480028 0003D1E8
	v_add3_u32 v21, v232, v24, 1                               // 000000014BA0: D1FF0015 020631E8
	v_cndmask_b32_e64 v41, v21, v23, s[40:41]                  // 000000014BA8: D1000029 00A22F15
	v_cmp_u_f32_e64 s[40:41], v233, v233                       // 000000014BB0: D0480028 0003D3E9
	v_add3_u32 v21, v233, v24, 1                               // 000000014BB8: D1FF0015 020631E9
	v_cndmask_b32_e64 v42, v21, v23, s[40:41]                  // 000000014BC0: D100002A 00A22F15
	v_perm_b32 v232, v42, v41, s52                             // 000000014BC8: D1ED00E8 00D2532A
	v_cmp_u_f32_e64 s[40:41], v234, v234                       // 000000014BD0: D0480028 0003D5EA
	v_add3_u32 v21, v234, v24, 1                               // 000000014BD8: D1FF0015 020631EA
	v_cndmask_b32_e64 v41, v21, v23, s[40:41]                  // 000000014BE0: D1000029 00A22F15
	v_cmp_u_f32_e64 s[40:41], v235, v235                       // 000000014BE8: D0480028 0003D7EB
	v_add3_u32 v21, v235, v24, 1                               // 000000014BF0: D1FF0015 020631EB
	v_cndmask_b32_e64 v42, v21, v23, s[40:41]                  // 000000014BF8: D100002A 00A22F15
	v_perm_b32 v233, v42, v41, s52                             // 000000014C00: D1ED00E9 00D2532A
	v_cmp_u_f32_e64 s[40:41], v236, v236                       // 000000014C08: D0480028 0003D9EC
	v_add3_u32 v21, v236, v24, 1                               // 000000014C10: D1FF0015 020631EC
	v_cndmask_b32_e64 v41, v21, v23, s[40:41]                  // 000000014C18: D1000029 00A22F15
	v_cmp_u_f32_e64 s[40:41], v237, v237                       // 000000014C20: D0480028 0003DBED
	v_add3_u32 v21, v237, v24, 1                               // 000000014C28: D1FF0015 020631ED
	v_cndmask_b32_e64 v42, v21, v23, s[40:41]                  // 000000014C30: D100002A 00A22F15
	v_perm_b32 v234, v42, v41, s52                             // 000000014C38: D1ED00EA 00D2532A
	v_cmp_u_f32_e64 s[40:41], v238, v238                       // 000000014C40: D0480028 0003DDEE
	v_add3_u32 v21, v238, v24, 1                               // 000000014C48: D1FF0015 020631EE
	v_cndmask_b32_e64 v41, v21, v23, s[40:41]                  // 000000014C50: D1000029 00A22F15
	v_cmp_u_f32_e64 s[40:41], v239, v239                       // 000000014C58: D0480028 0003DFEF
	v_add3_u32 v21, v239, v24, 1                               // 000000014C60: D1FF0015 020631EF
	v_cndmask_b32_e64 v42, v21, v23, s[40:41]                  // 000000014C68: D100002A 00A22F15
	v_perm_b32 v235, v42, v41, s52                             // 000000014C70: D1ED00EB 00D2532A
	s_nop 1                                                    // 000000014C78: BF800001
	v_lshrrev_b32_e32 v41, 4, v0                               // 000000014C7C: 20520084
	v_mul_i32_i24_e32 v45, 34, v41                             // 000000014C80: 0C5A52A2
	v_and_b32_e32 v41, 15, v0                                  // 000000014C84: 2652008F
	v_mul_i32_i24_e32 v42, 2, v41                              // 000000014C88: 0C545282
	v_add_u32_e32 v45, v42, v45                                // 000000014C8C: 685A5B2A
	s_mul_i32 s60, s7, 0x88                                    // 000000014C90: 923CFF07 00000088
	v_add_u32_e32 v45, s60, v45                                // 000000014C98: 685A5A3C
	v_lshlrev_b32_e32 v45, 2, v45                              // 000000014C9C: 245A5A82
	ds_write_b64 v45, v[232:233] offset:41472                  // 000000014CA0: D89AA200 0000E82D
	ds_write_b64 v45, v[234:235] offset:43648                  // 000000014CA8: D89AAA80 0000EA2D
	v_lshrrev_b32_e32 v41, 1, v0                               // 000000014CB0: 20520081
	v_mul_i32_i24_e32 v45, 34, v41                             // 000000014CB4: 0C5A52A2
	v_and_b32_e32 v42, 1, v0                                   // 000000014CB8: 26540081
	v_add_u32_e32 v45, v42, v45                                // 000000014CBC: 685A5B2A
	s_mul_i32 s60, s7, 2                                       // 000000014CC0: 923C8207
	v_add_u32_e32 v45, s60, v45                                // 000000014CC4: 685A5A3C
	v_lshlrev_b32_e32 v45, 2, v45                              // 000000014CC8: 245A5A82
	s_waitcnt lgkmcnt(0)                                       // 000000014CCC: BF8CC07F
	s_barrier                                                  // 000000014CD0: BF8A0000
	ds_read_b32 v232, v45 offset:41472                         // 000000014CD4: D86CA200 E800002D
	ds_read_b32 v233, v45 offset:41504                         // 000000014CDC: D86CA220 E900002D
	s_mul_i32 s60, s7, 0x100                                   // 000000014CE4: 923CFF07 00000100
	v_lshlrev_b32_e32 v41, 2, v0                               // 000000014CEC: 24520082
	v_add_u32_e64 v41, v41, s60                                // 000000014CF0: D1340029 00007929
	s_waitcnt lgkmcnt(0)                                       // 000000014CF8: BF8CC07F
	buffer_store_dword v232, v41, s[8:11], 0 offen             // 000000014CFC: E0701000 8002E829
	buffer_store_dword v233, v41, s[8:11], 0 offen offset:1024 // 000000014D04: E0701400 8002E929
	s_add_u32 s8, s75, s8                                      // 000000014D0C: 8008084B
	s_addc_u32 s9, 0, s9                                       // 000000014D10: 82090980
	s_branch label_4AC6                                        // 000000014D14: BF820000

0000000000014d18 <label_4AC6>:
	s_waitcnt vmcnt(0) expcnt(0) lgkmcnt(0)                    // 000000014D18: BF8C0000
	s_endpgm                                                   // 000000014D1C: BF810000
